;; amdgpu-corpus repo=ROCm/rocFFT kind=compiled arch=gfx1201 opt=O3
	.text
	.amdgcn_target "amdgcn-amd-amdhsa--gfx1201"
	.amdhsa_code_object_version 6
	.protected	bluestein_single_fwd_len770_dim1_dp_op_CI_CI ; -- Begin function bluestein_single_fwd_len770_dim1_dp_op_CI_CI
	.globl	bluestein_single_fwd_len770_dim1_dp_op_CI_CI
	.p2align	8
	.type	bluestein_single_fwd_len770_dim1_dp_op_CI_CI,@function
bluestein_single_fwd_len770_dim1_dp_op_CI_CI: ; @bluestein_single_fwd_len770_dim1_dp_op_CI_CI
; %bb.0:
	s_load_b128 s[8:11], s[0:1], 0x28
	v_mul_u32_u24_e32 v1, 0x254, v0
	v_mov_b32_e32 v105, 0
	s_mov_b32 s2, exec_lo
	s_delay_alu instid0(VALU_DEP_2) | instskip(NEXT) | instid1(VALU_DEP_1)
	v_lshrrev_b32_e32 v1, 16, v1
	v_lshl_add_u32 v104, ttmp9, 1, v1
	s_wait_kmcnt 0x0
	s_delay_alu instid0(VALU_DEP_1)
	v_cmpx_gt_u64_e64 s[8:9], v[104:105]
	s_cbranch_execz .LBB0_23
; %bb.1:
	v_mul_lo_u16 v2, 0x6e, v1
	s_clause 0x1
	s_load_b64 s[12:13], s[0:1], 0x0
	s_load_b64 s[8:9], s[0:1], 0x38
	v_and_b32_e32 v1, 1, v1
	v_sub_nc_u16 v0, v0, v2
	s_delay_alu instid0(VALU_DEP_2) | instskip(NEXT) | instid1(VALU_DEP_2)
	v_cmp_eq_u32_e32 vcc_lo, 1, v1
	v_and_b32_e32 v149, 0xffff, v0
	v_cndmask_b32_e64 v156, 0, 0x302, vcc_lo
	v_cmp_gt_u16_e32 vcc_lo, 0x46, v0
	s_delay_alu instid0(VALU_DEP_3) | instskip(NEXT) | instid1(VALU_DEP_3)
	v_lshlrev_b32_e32 v150, 4, v149
	v_lshlrev_b32_e32 v151, 4, v156
	s_and_saveexec_b32 s3, vcc_lo
	s_cbranch_execz .LBB0_3
; %bb.2:
	s_load_b64 s[4:5], s[0:1], 0x18
	s_wait_kmcnt 0x0
	s_load_b128 s[4:7], s[4:5], 0x0
	s_wait_kmcnt 0x0
	v_mad_co_u64_u32 v[8:9], null, s4, v149, 0
	v_mad_co_u64_u32 v[0:1], null, s6, v104, 0
	s_delay_alu instid0(VALU_DEP_2) | instskip(NEXT) | instid1(VALU_DEP_1)
	v_mov_b32_e32 v2, v9
	v_mad_co_u64_u32 v[3:4], null, s7, v104, v[1:2]
	s_delay_alu instid0(VALU_DEP_1) | instskip(SKIP_2) | instid1(VALU_DEP_2)
	v_mov_b32_e32 v1, v3
	v_mad_co_u64_u32 v[4:5], null, s5, v149, v[2:3]
	s_mul_u64 s[4:5], s[4:5], 0x460
	v_lshlrev_b64_e32 v[10:11], 4, v[0:1]
	s_delay_alu instid0(VALU_DEP_2) | instskip(SKIP_4) | instid1(VALU_DEP_1)
	v_mov_b32_e32 v9, v4
	s_clause 0x1
	global_load_b128 v[0:3], v150, s[12:13]
	global_load_b128 v[4:7], v150, s[12:13] offset:1120
	v_add_co_u32 v18, s2, s10, v10
	v_add_co_ci_u32_e64 v19, s2, s11, v11, s2
	v_lshlrev_b64_e32 v[16:17], 4, v[8:9]
	s_clause 0x1
	global_load_b128 v[8:11], v150, s[12:13] offset:2240
	global_load_b128 v[12:15], v150, s[12:13] offset:3360
	v_add_co_u32 v32, s2, v18, v16
	s_wait_alu 0xf1ff
	v_add_co_ci_u32_e64 v33, s2, v19, v17, s2
	s_clause 0x1
	global_load_b128 v[16:19], v150, s[12:13] offset:4480
	global_load_b128 v[20:23], v150, s[12:13] offset:5600
	s_wait_alu 0xfffe
	v_add_co_u32 v36, s2, v32, s4
	s_wait_alu 0xf1ff
	v_add_co_ci_u32_e64 v37, s2, s5, v33, s2
	s_clause 0x1
	global_load_b128 v[24:27], v150, s[12:13] offset:6720
	global_load_b128 v[28:31], v150, s[12:13] offset:7840
	v_add_co_u32 v40, s2, v36, s4
	s_wait_alu 0xf1ff
	v_add_co_ci_u32_e64 v41, s2, s5, v37, s2
	s_clause 0x1
	global_load_b128 v[32:35], v[32:33], off
	global_load_b128 v[36:39], v[36:37], off
	v_add_co_u32 v44, s2, v40, s4
	s_wait_alu 0xf1ff
	v_add_co_ci_u32_e64 v45, s2, s5, v41, s2
	s_delay_alu instid0(VALU_DEP_2) | instskip(SKIP_1) | instid1(VALU_DEP_2)
	v_add_co_u32 v48, s2, v44, s4
	s_wait_alu 0xf1ff
	v_add_co_ci_u32_e64 v49, s2, s5, v45, s2
	s_clause 0x1
	global_load_b128 v[40:43], v[40:41], off
	global_load_b128 v[44:47], v[44:45], off
	v_add_co_u32 v52, s2, v48, s4
	s_wait_alu 0xf1ff
	v_add_co_ci_u32_e64 v53, s2, s5, v49, s2
	global_load_b128 v[48:51], v[48:49], off
	v_add_co_u32 v56, s2, v52, s4
	s_wait_alu 0xf1ff
	v_add_co_ci_u32_e64 v57, s2, s5, v53, s2
	;; [unrolled: 4-line block ×6, first 2 shown]
	s_clause 0x1
	global_load_b128 v[68:71], v150, s[12:13] offset:8960
	global_load_b128 v[72:75], v150, s[12:13] offset:10080
	global_load_b128 v[76:79], v[76:77], off
	global_load_b128 v[80:83], v150, s[12:13] offset:11200
	global_load_b128 v[84:87], v[84:85], off
	s_wait_loadcnt 0xd
	v_mul_f64_e32 v[88:89], v[34:35], v[2:3]
	v_mul_f64_e32 v[2:3], v[32:33], v[2:3]
	s_wait_loadcnt 0xc
	v_mul_f64_e32 v[90:91], v[38:39], v[6:7]
	v_mul_f64_e32 v[6:7], v[36:37], v[6:7]
	;; [unrolled: 3-line block ×11, first 2 shown]
	v_fma_f64 v[30:31], v[32:33], v[0:1], v[88:89]
	v_fma_f64 v[32:33], v[34:35], v[0:1], -v[2:3]
	v_fma_f64 v[0:1], v[36:37], v[4:5], v[90:91]
	v_fma_f64 v[2:3], v[38:39], v[4:5], -v[6:7]
	;; [unrolled: 2-line block ×8, first 2 shown]
	v_lshl_add_u32 v28, v149, 4, v151
	v_add_nc_u32_e32 v29, v151, v150
	v_fma_f64 v[34:35], v[64:65], v[68:69], v[107:108]
	v_fma_f64 v[36:37], v[66:67], v[68:69], -v[70:71]
	v_fma_f64 v[38:39], v[76:77], v[72:73], v[109:110]
	v_fma_f64 v[40:41], v[78:79], v[72:73], -v[74:75]
	;; [unrolled: 2-line block ×3, first 2 shown]
	ds_store_b128 v28, v[30:33]
	ds_store_b128 v29, v[0:3] offset:1120
	ds_store_b128 v29, v[4:7] offset:2240
	;; [unrolled: 1-line block ×10, first 2 shown]
.LBB0_3:
	s_or_b32 exec_lo, exec_lo, s3
	global_wb scope:SCOPE_SE
	s_wait_dscnt 0x0
	s_wait_kmcnt 0x0
	s_barrier_signal -1
	s_barrier_wait -1
	global_inv scope:SCOPE_SE
                                        ; implicit-def: $vgpr8_vgpr9
                                        ; implicit-def: $vgpr40_vgpr41
                                        ; implicit-def: $vgpr36_vgpr37
                                        ; implicit-def: $vgpr32_vgpr33
                                        ; implicit-def: $vgpr28_vgpr29
                                        ; implicit-def: $vgpr24_vgpr25
                                        ; implicit-def: $vgpr20_vgpr21
                                        ; implicit-def: $vgpr16_vgpr17
                                        ; implicit-def: $vgpr12_vgpr13
                                        ; implicit-def: $vgpr4_vgpr5
                                        ; implicit-def: $vgpr0_vgpr1
	s_and_saveexec_b32 s2, vcc_lo
	s_cbranch_execz .LBB0_5
; %bb.4:
	v_lshl_add_u32 v0, v156, 4, v150
	ds_load_b128 v[8:11], v0
	ds_load_b128 v[40:43], v0 offset:1120
	ds_load_b128 v[36:39], v0 offset:2240
	;; [unrolled: 1-line block ×10, first 2 shown]
.LBB0_5:
	s_wait_alu 0xfffe
	s_or_b32 exec_lo, exec_lo, s2
	s_wait_dscnt 0x9
	v_add_f64_e32 v[48:49], v[8:9], v[40:41]
	v_add_f64_e32 v[50:51], v[10:11], v[42:43]
	s_wait_dscnt 0x0
	v_add_f64_e32 v[44:45], v[40:41], v[0:1]
	v_add_f64_e32 v[46:47], v[42:43], v[2:3]
	v_add_f64_e64 v[40:41], v[40:41], -v[0:1]
	v_add_f64_e64 v[42:43], v[42:43], -v[2:3]
	;; [unrolled: 1-line block ×4, first 2 shown]
	v_add_f64_e32 v[60:61], v[32:33], v[12:13]
	v_add_f64_e32 v[62:63], v[34:35], v[14:15]
	s_mov_b32 s20, 0xf8bb580b
	s_mov_b32 s18, 0x43842ef
	;; [unrolled: 1-line block ×9, first 2 shown]
	v_add_f64_e64 v[52:53], v[38:39], -v[6:7]
	v_add_f64_e64 v[54:55], v[36:37], -v[4:5]
	s_mov_b32 s25, 0xbfd207e7
	v_add_f64_e32 v[64:65], v[28:29], v[16:17]
	v_add_f64_e32 v[66:67], v[30:31], v[18:19]
	v_add_f64_e64 v[68:69], v[28:29], -v[16:17]
	v_add_f64_e64 v[70:71], v[30:31], -v[18:19]
	;; [unrolled: 1-line block ×3, first 2 shown]
	s_mov_b32 s2, 0x8764f0ba
	s_mov_b32 s4, 0xd9c712b6
	;; [unrolled: 1-line block ×11, first 2 shown]
	v_add_f64_e32 v[48:49], v[48:49], v[36:37]
	v_add_f64_e32 v[50:51], v[50:51], v[38:39]
	s_mov_b32 s27, 0x3fefac9e
	s_mov_b32 s29, 0x3fe14ced
	v_mul_f64_e32 v[82:83], s[20:21], v[40:41]
	v_mul_f64_e32 v[80:81], s[20:21], v[42:43]
	;; [unrolled: 1-line block ×10, first 2 shown]
	s_mov_b32 s30, s24
	s_mov_b32 s26, s18
	;; [unrolled: 1-line block ×3, first 2 shown]
	v_add_f64_e32 v[36:37], v[36:37], v[4:5]
	v_add_f64_e32 v[38:39], v[38:39], v[6:7]
	v_mul_f64_e32 v[96:97], s[16:17], v[52:53]
	v_mul_f64_e32 v[98:99], s[16:17], v[54:55]
	s_mov_b32 s17, 0x3fed1bb4
	v_add_f64_e32 v[72:73], v[24:25], v[20:21]
	v_add_f64_e32 v[74:75], v[26:27], v[22:23]
	v_add_f64_e64 v[78:79], v[26:27], -v[22:23]
	v_mul_f64_e32 v[100:101], s[22:23], v[52:53]
	v_mul_f64_e32 v[102:103], s[22:23], v[54:55]
	;; [unrolled: 1-line block ×13, first 2 shown]
	v_add_f64_e32 v[32:33], v[48:49], v[32:33]
	v_add_f64_e32 v[34:35], v[50:51], v[34:35]
	v_mul_f64_e32 v[48:49], s[30:31], v[52:53]
	v_mul_f64_e32 v[50:51], s[30:31], v[54:55]
	;; [unrolled: 1-line block ×4, first 2 shown]
	s_wait_alu 0xfffe
	v_fma_f64 v[161:162], v[44:45], s[4:5], -v[84:85]
	v_fma_f64 v[163:164], v[46:47], s[4:5], v[86:87]
	v_fma_f64 v[84:85], v[44:45], s[4:5], v[84:85]
	v_fma_f64 v[86:87], v[46:47], s[4:5], -v[86:87]
	v_fma_f64 v[165:166], v[44:45], s[6:7], -v[88:89]
	v_fma_f64 v[167:168], v[46:47], s[6:7], v[90:91]
	v_fma_f64 v[88:89], v[44:45], s[6:7], v[88:89]
	v_fma_f64 v[90:91], v[46:47], s[6:7], -v[90:91]
	;; [unrolled: 4-line block ×4, first 2 shown]
	v_mul_f64_e32 v[119:120], s[20:21], v[58:59]
	v_mul_f64_e32 v[121:122], s[22:23], v[56:57]
	;; [unrolled: 1-line block ×5, first 2 shown]
	v_fma_f64 v[177:178], v[36:37], s[10:11], -v[100:101]
	v_fma_f64 v[179:180], v[38:39], s[10:11], v[102:103]
	v_fma_f64 v[100:101], v[36:37], s[10:11], v[100:101]
	v_fma_f64 v[102:103], v[38:39], s[10:11], -v[102:103]
	v_fma_f64 v[185:186], v[36:37], s[6:7], -v[105:106]
	v_fma_f64 v[187:188], v[38:39], s[6:7], v[107:108]
	v_fma_f64 v[105:106], v[36:37], s[6:7], v[105:106]
	v_mul_f64_e32 v[125:126], s[22:23], v[70:71]
	v_mul_f64_e32 v[127:128], s[22:23], v[68:69]
	;; [unrolled: 1-line block ×4, first 2 shown]
	v_add_f64_e32 v[28:29], v[32:33], v[28:29]
	v_add_f64_e32 v[30:31], v[34:35], v[30:31]
	v_mul_f64_e32 v[32:33], s[16:17], v[76:77]
	v_fma_f64 v[34:35], v[44:45], s[2:3], -v[80:81]
	v_fma_f64 v[76:77], v[46:47], s[2:3], v[82:83]
	v_fma_f64 v[80:81], v[44:45], s[2:3], v[80:81]
	v_fma_f64 v[82:83], v[46:47], s[2:3], -v[82:83]
	v_fma_f64 v[44:45], v[36:37], s[4:5], -v[96:97]
	v_fma_f64 v[46:47], v[38:39], s[4:5], v[98:99]
	v_fma_f64 v[96:97], v[36:37], s[4:5], v[96:97]
	v_fma_f64 v[98:99], v[38:39], s[4:5], -v[98:99]
	;; [unrolled: 4-line block ×3, first 2 shown]
	v_add_f64_e32 v[161:162], v[8:9], v[161:162]
	v_add_f64_e32 v[163:164], v[10:11], v[163:164]
	v_add_f64_e32 v[84:85], v[8:9], v[84:85]
	v_add_f64_e32 v[86:87], v[10:11], v[86:87]
	v_add_f64_e32 v[165:166], v[8:9], v[165:166]
	v_add_f64_e32 v[167:168], v[10:11], v[167:168]
	v_add_f64_e32 v[88:89], v[8:9], v[88:89]
	v_add_f64_e32 v[90:91], v[10:11], v[90:91]
	v_add_f64_e32 v[169:170], v[8:9], v[169:170]
	v_add_f64_e32 v[171:172], v[10:11], v[171:172]
	v_add_f64_e32 v[92:93], v[8:9], v[92:93]
	v_add_f64_e32 v[94:95], v[10:11], v[94:95]
	v_add_f64_e32 v[173:174], v[8:9], v[173:174]
	v_add_f64_e32 v[175:176], v[10:11], v[175:176]
	v_mul_f64_e32 v[133:134], s[20:21], v[70:71]
	v_mul_f64_e32 v[135:136], s[20:21], v[68:69]
	;; [unrolled: 1-line block ×6, first 2 shown]
	v_fma_f64 v[189:190], v[60:61], s[14:15], -v[113:114]
	v_fma_f64 v[191:192], v[62:63], s[14:15], v[115:116]
	v_fma_f64 v[113:114], v[60:61], s[14:15], v[113:114]
	v_add_f64_e32 v[24:25], v[28:29], v[24:25]
	v_add_f64_e32 v[26:27], v[30:31], v[26:27]
	v_fma_f64 v[28:29], v[38:39], s[6:7], -v[107:108]
	v_fma_f64 v[30:31], v[36:37], s[2:3], -v[52:53]
	v_fma_f64 v[107:108], v[38:39], s[2:3], v[54:55]
	v_fma_f64 v[36:37], v[36:37], s[2:3], v[52:53]
	v_fma_f64 v[38:39], v[38:39], s[2:3], -v[54:55]
	v_add_f64_e32 v[34:35], v[8:9], v[34:35]
	v_add_f64_e32 v[76:77], v[10:11], v[76:77]
	;; [unrolled: 1-line block ×6, first 2 shown]
	v_fma_f64 v[52:53], v[60:61], s[6:7], -v[109:110]
	v_fma_f64 v[54:55], v[62:63], s[6:7], v[111:112]
	v_fma_f64 v[109:110], v[60:61], s[6:7], v[109:110]
	v_fma_f64 v[111:112], v[62:63], s[6:7], -v[111:112]
	v_fma_f64 v[115:116], v[62:63], s[14:15], -v[115:116]
	;; [unrolled: 1-line block ×3, first 2 shown]
	v_fma_f64 v[195:196], v[62:63], s[2:3], v[119:120]
	v_fma_f64 v[117:118], v[60:61], s[2:3], v[117:118]
	v_fma_f64 v[119:120], v[62:63], s[2:3], -v[119:120]
	v_fma_f64 v[40:41], v[60:61], s[10:11], v[121:122]
	v_fma_f64 v[42:43], v[62:63], s[10:11], -v[123:124]
	v_fma_f64 v[201:202], v[60:61], s[4:5], -v[56:57]
	v_fma_f64 v[56:57], v[60:61], s[4:5], v[56:57]
	v_add_f64_e32 v[48:49], v[48:49], v[88:89]
	v_add_f64_e32 v[50:51], v[50:51], v[90:91]
	;; [unrolled: 1-line block ×5, first 2 shown]
	v_mul_f64_e32 v[141:142], s[24:25], v[78:79]
	v_mul_f64_e32 v[145:146], s[28:29], v[78:79]
	v_mul_f64_e32 v[152:153], s[22:23], v[78:79]
	v_mul_f64_e32 v[157:158], s[18:19], v[78:79]
	v_mul_f64_e32 v[78:79], s[16:17], v[78:79]
	v_fma_f64 v[197:198], v[64:65], s[6:7], -v[129:130]
	v_fma_f64 v[199:200], v[66:67], s[6:7], v[131:132]
	v_add_f64_e32 v[20:21], v[24:25], v[20:21]
	v_add_f64_e32 v[22:23], v[26:27], v[22:23]
	v_fma_f64 v[24:25], v[60:61], s[10:11], -v[121:122]
	v_fma_f64 v[26:27], v[62:63], s[10:11], v[123:124]
	v_fma_f64 v[60:61], v[62:63], s[4:5], v[58:59]
	v_fma_f64 v[58:59], v[62:63], s[4:5], -v[58:59]
	v_add_f64_e32 v[28:29], v[28:29], v[94:95]
	v_add_f64_e32 v[34:35], v[44:45], v[34:35]
	;; [unrolled: 1-line block ×15, first 2 shown]
	v_fma_f64 v[121:122], v[64:65], s[10:11], -v[125:126]
	v_fma_f64 v[123:124], v[66:67], s[10:11], v[127:128]
	v_fma_f64 v[125:126], v[64:65], s[10:11], v[125:126]
	v_fma_f64 v[127:128], v[66:67], s[10:11], -v[127:128]
	v_fma_f64 v[129:130], v[64:65], s[6:7], v[129:130]
	v_fma_f64 v[131:132], v[66:67], s[6:7], -v[131:132]
	;; [unrolled: 2-line block ×3, first 2 shown]
	v_fma_f64 v[98:99], v[64:65], s[14:15], -v[137:138]
	v_fma_f64 v[100:101], v[66:67], s[14:15], v[139:140]
	v_fma_f64 v[102:103], v[64:65], s[14:15], v[137:138]
	v_fma_f64 v[105:106], v[66:67], s[14:15], -v[139:140]
	v_fma_f64 v[139:140], v[64:65], s[4:5], -v[70:71]
	v_add_f64_e32 v[48:49], v[56:57], v[48:49]
	v_add_f64_e32 v[56:57], v[193:194], v[88:89]
	v_fma_f64 v[107:108], v[72:73], s[14:15], -v[141:142]
	v_fma_f64 v[137:138], v[74:75], s[14:15], -v[143:144]
	v_add_f64_e32 v[16:17], v[20:21], v[16:17]
	v_add_f64_e32 v[18:19], v[22:23], v[18:19]
	v_fma_f64 v[20:21], v[64:65], s[2:3], -v[133:134]
	v_fma_f64 v[22:23], v[66:67], s[2:3], v[135:136]
	v_fma_f64 v[64:65], v[64:65], s[4:5], v[70:71]
	;; [unrolled: 1-line block ×3, first 2 shown]
	v_fma_f64 v[66:67], v[66:67], s[4:5], -v[68:69]
	v_add_f64_e32 v[34:35], v[52:53], v[34:35]
	v_add_f64_e32 v[44:45], v[54:55], v[44:45]
	;; [unrolled: 1-line block ×18, first 2 shown]
	v_fma_f64 v[133:134], v[74:75], s[14:15], v[143:144]
	v_fma_f64 v[135:136], v[72:73], s[14:15], v[141:142]
	;; [unrolled: 1-line block ×3, first 2 shown]
	v_fma_f64 v[84:85], v[74:75], s[2:3], -v[147:148]
	v_fma_f64 v[86:87], v[72:73], s[10:11], -v[152:153]
	v_fma_f64 v[88:89], v[74:75], s[10:11], v[154:155]
	v_fma_f64 v[90:91], v[72:73], s[10:11], v[152:153]
	v_fma_f64 v[92:93], v[74:75], s[10:11], -v[154:155]
	v_fma_f64 v[94:95], v[72:73], s[6:7], -v[157:158]
	v_fma_f64 v[96:97], v[74:75], s[6:7], v[159:160]
	v_fma_f64 v[109:110], v[72:73], s[6:7], v[157:158]
	v_fma_f64 v[111:112], v[74:75], s[6:7], -v[159:160]
	v_fma_f64 v[113:114], v[72:73], s[4:5], -v[78:79]
	v_add_f64_e32 v[12:13], v[16:17], v[12:13]
	v_add_f64_e32 v[14:15], v[18:19], v[14:15]
	v_fma_f64 v[16:17], v[72:73], s[2:3], -v[145:146]
	v_fma_f64 v[18:19], v[74:75], s[2:3], v[147:148]
	v_fma_f64 v[115:116], v[74:75], s[4:5], v[32:33]
	;; [unrolled: 1-line block ×3, first 2 shown]
	v_fma_f64 v[32:33], v[74:75], s[4:5], -v[32:33]
	v_add_f64_e32 v[34:35], v[121:122], v[34:35]
	v_add_f64_e32 v[40:41], v[123:124], v[44:45]
	;; [unrolled: 1-line block ×20, first 2 shown]
	v_mul_lo_u16 v155, v149, 11
	global_wb scope:SCOPE_SE
	s_barrier_signal -1
	s_barrier_wait -1
	global_inv scope:SCOPE_SE
	v_add_f64_e32 v[4:5], v[12:13], v[4:5]
	v_add_f64_e32 v[6:7], v[14:15], v[6:7]
	;; [unrolled: 1-line block ×24, first 2 shown]
	s_and_saveexec_b32 s2, vcc_lo
	s_cbranch_execz .LBB0_7
; %bb.6:
	v_and_b32_e32 v0, 0xffff, v155
	s_delay_alu instid0(VALU_DEP_1)
	v_add_lshl_u32 v0, v156, v0, 4
	ds_store_b128 v0, v[36:39]
	ds_store_b128 v0, v[56:59] offset:16
	ds_store_b128 v0, v[40:43] offset:32
	;; [unrolled: 1-line block ×10, first 2 shown]
.LBB0_7:
	s_wait_alu 0xfffe
	s_or_b32 exec_lo, exec_lo, s2
	s_clause 0x1
	s_load_b64 s[2:3], s[0:1], 0x20
	s_load_b64 s[4:5], s[0:1], 0x8
	v_cmp_gt_u16_e64 s0, 0x4d, v149
	v_add_lshl_u32 v152, v156, v149, 4
	global_wb scope:SCOPE_SE
	s_wait_dscnt 0x0
	s_wait_kmcnt 0x0
	s_barrier_signal -1
	s_barrier_wait -1
	global_inv scope:SCOPE_SE
	s_and_saveexec_b32 s1, s0
	s_cbranch_execz .LBB0_9
; %bb.8:
	ds_load_b128 v[36:39], v152
	ds_load_b128 v[56:59], v152 offset:1232
	ds_load_b128 v[40:43], v152 offset:2464
	;; [unrolled: 1-line block ×9, first 2 shown]
.LBB0_9:
	s_wait_alu 0xfffe
	s_or_b32 exec_lo, exec_lo, s1
	v_and_b32_e32 v0, 0xff, v149
	s_mov_b32 s6, 0x134454ff
	s_mov_b32 s7, 0x3fee6f0e
	s_mov_b32 s19, 0xbfee6f0e
	s_wait_alu 0xfffe
	s_mov_b32 s18, s6
	v_mul_lo_u16 v0, 0x75, v0
	s_mov_b32 s10, 0x4755a5e
	s_mov_b32 s11, 0x3fe2cf23
	;; [unrolled: 1-line block ×3, first 2 shown]
	s_wait_alu 0xfffe
	s_mov_b32 s20, s10
	v_lshrrev_b16 v0, 8, v0
	s_mov_b32 s14, 0x372fe950
	s_mov_b32 s15, 0x3fd3c6ef
	;; [unrolled: 1-line block ×4, first 2 shown]
	v_sub_nc_u16 v1, v149, v0
	s_delay_alu instid0(VALU_DEP_1) | instskip(NEXT) | instid1(VALU_DEP_1)
	v_lshrrev_b16 v1, 1, v1
	v_and_b32_e32 v1, 0x7f, v1
	s_delay_alu instid0(VALU_DEP_1) | instskip(NEXT) | instid1(VALU_DEP_1)
	v_add_nc_u16 v0, v1, v0
	v_lshrrev_b16 v154, 3, v0
	s_delay_alu instid0(VALU_DEP_1) | instskip(SKIP_1) | instid1(VALU_DEP_2)
	v_mul_lo_u16 v0, v154, 11
	v_and_b32_e32 v154, 0xffff, v154
	v_sub_nc_u16 v0, v149, v0
	s_delay_alu instid0(VALU_DEP_1) | instskip(NEXT) | instid1(VALU_DEP_1)
	v_and_b32_e32 v153, 0xff, v0
	v_mad_co_u64_u32 v[20:21], null, 0x90, v153, s[4:5]
	s_clause 0x8
	global_load_b128 v[0:3], v[20:21], off offset:32
	global_load_b128 v[24:27], v[20:21], off offset:64
	;; [unrolled: 1-line block ×4, first 2 shown]
	global_load_b128 v[4:7], v[20:21], off
	global_load_b128 v[16:19], v[20:21], off offset:16
	global_load_b128 v[8:11], v[20:21], off offset:48
	;; [unrolled: 1-line block ×4, first 2 shown]
	global_wb scope:SCOPE_SE
	s_wait_loadcnt_dscnt 0x0
	s_barrier_signal -1
	s_barrier_wait -1
	global_inv scope:SCOPE_SE
	v_mul_f64_e32 v[80:81], v[66:67], v[2:3]
	v_mul_f64_e32 v[82:83], v[64:65], v[2:3]
	v_mul_f64_e32 v[84:85], v[70:71], v[26:27]
	v_mul_f64_e32 v[86:87], v[76:77], v[30:31]
	v_mul_f64_e32 v[92:93], v[78:79], v[30:31]
	v_mul_f64_e32 v[94:95], v[74:75], v[34:35]
	v_mul_f64_e32 v[96:97], v[68:69], v[26:27]
	v_mul_f64_e32 v[98:99], v[72:73], v[34:35]
	v_mul_f64_e32 v[100:101], v[58:59], v[6:7]
	v_mul_f64_e32 v[102:103], v[56:57], v[6:7]
	v_mul_f64_e32 v[105:106], v[48:49], v[14:15]
	v_mul_f64_e32 v[107:108], v[52:53], v[22:23]
	v_fma_f64 v[88:89], v[64:65], v[0:1], -v[80:81]
	v_fma_f64 v[90:91], v[66:67], v[0:1], v[82:83]
	v_fma_f64 v[84:85], v[68:69], v[24:25], -v[84:85]
	v_fma_f64 v[82:83], v[78:79], v[28:29], v[86:87]
	v_fma_f64 v[80:81], v[76:77], v[28:29], -v[92:93]
	v_fma_f64 v[72:73], v[72:73], v[32:33], -v[94:95]
	v_fma_f64 v[86:87], v[70:71], v[24:25], v[96:97]
	v_fma_f64 v[74:75], v[74:75], v[32:33], v[98:99]
	v_mul_f64_e32 v[64:65], v[42:43], v[18:19]
	v_mul_f64_e32 v[66:67], v[40:41], v[18:19]
	v_mul_f64_e32 v[68:69], v[46:47], v[10:11]
	v_mul_f64_e32 v[70:71], v[44:45], v[10:11]
	v_mul_f64_e32 v[76:77], v[50:51], v[14:15]
	v_mul_f64_e32 v[78:79], v[54:55], v[22:23]
	v_fma_f64 v[56:57], v[56:57], v[4:5], -v[100:101]
	v_fma_f64 v[58:59], v[58:59], v[4:5], v[102:103]
	v_add_f64_e32 v[102:103], v[90:91], v[82:83]
	v_add_f64_e32 v[109:110], v[88:89], v[80:81]
	;; [unrolled: 1-line block ×3, first 2 shown]
	v_add_f64_e64 v[117:118], v[90:91], -v[82:83]
	v_add_f64_e32 v[115:116], v[86:87], v[74:75]
	v_fma_f64 v[96:97], v[40:41], v[16:17], -v[64:65]
	v_fma_f64 v[98:99], v[42:43], v[16:17], v[66:67]
	v_fma_f64 v[92:93], v[44:45], v[8:9], -v[68:69]
	v_fma_f64 v[94:95], v[46:47], v[8:9], v[70:71]
	v_fma_f64 v[44:45], v[48:49], v[12:13], -v[76:77]
	v_fma_f64 v[40:41], v[52:53], v[20:21], -v[78:79]
	v_fma_f64 v[46:47], v[50:51], v[12:13], v[105:106]
	v_fma_f64 v[42:43], v[54:55], v[20:21], v[107:108]
	v_add_f64_e64 v[113:114], v[86:87], -v[74:75]
	v_add_f64_e64 v[100:101], v[84:85], -v[72:73]
	;; [unrolled: 1-line block ×9, first 2 shown]
	v_fma_f64 v[48:49], v[102:103], -0.5, v[58:59]
	v_fma_f64 v[50:51], v[109:110], -0.5, v[56:57]
	;; [unrolled: 1-line block ×3, first 2 shown]
	v_add_f64_e64 v[111:112], v[72:73], -v[80:81]
	v_fma_f64 v[107:108], v[115:116], -0.5, v[58:59]
	v_add_f64_e64 v[115:116], v[90:91], -v[86:87]
	v_add_f64_e64 v[143:144], v[94:95], -v[98:99]
	v_add_f64_e32 v[52:53], v[92:93], v[44:45]
	v_add_f64_e32 v[64:65], v[96:97], v[40:41]
	;; [unrolled: 1-line block ×4, first 2 shown]
	v_add_f64_e64 v[137:138], v[98:99], -v[42:43]
	v_add_f64_e64 v[54:55], v[94:95], -v[46:47]
	v_add_f64_e64 v[102:103], v[96:97], -v[40:41]
	v_add_f64_e64 v[141:142], v[42:43], -v[46:47]
	v_add_f64_e32 v[109:110], v[70:71], v[76:77]
	v_add_f64_e64 v[145:146], v[46:47], -v[42:43]
	v_add_f64_e32 v[70:71], v[123:124], v[125:126]
	v_fma_f64 v[127:128], v[100:101], s[6:7], v[48:49]
	v_fma_f64 v[129:130], v[113:114], s[6:7], v[50:51]
	;; [unrolled: 1-line block ×6, first 2 shown]
	v_add_f64_e64 v[50:51], v[92:93], -v[44:45]
	v_fma_f64 v[48:49], v[52:53], -0.5, v[36:37]
	v_fma_f64 v[64:65], v[64:65], -0.5, v[36:37]
	;; [unrolled: 1-line block ×4, first 2 shown]
	v_add_f64_e32 v[68:69], v[78:79], v[111:112]
	v_add_f64_e32 v[111:112], v[115:116], v[119:120]
	s_wait_alu 0xfffe
	v_fma_f64 v[76:77], v[121:122], s[20:21], v[127:128]
	v_fma_f64 v[78:79], v[117:118], s[20:21], v[129:130]
	;; [unrolled: 1-line block ×6, first 2 shown]
	v_add_f64_e64 v[127:128], v[96:97], -v[92:93]
	v_add_f64_e64 v[129:130], v[40:41], -v[44:45]
	;; [unrolled: 1-line block ×5, first 2 shown]
	v_fma_f64 v[147:148], v[137:138], s[18:19], v[48:49]
	v_fma_f64 v[157:158], v[54:55], s[18:19], v[64:65]
	v_fma_f64 v[64:65], v[54:55], s[6:7], v[64:65]
	v_fma_f64 v[159:160], v[102:103], s[6:7], v[52:53]
	v_fma_f64 v[161:162], v[50:51], s[6:7], v[66:67]
	v_fma_f64 v[66:67], v[50:51], s[18:19], v[66:67]
	v_fma_f64 v[76:77], v[70:71], s[14:15], v[76:77]
	v_fma_f64 v[78:79], v[68:69], s[14:15], v[78:79]
	v_fma_f64 v[163:164], v[109:110], s[14:15], v[115:116]
	v_fma_f64 v[68:69], v[68:69], s[14:15], v[119:120]
	v_fma_f64 v[70:71], v[70:71], s[14:15], v[123:124]
	v_fma_f64 v[165:166], v[111:112], s[14:15], v[125:126]
	v_add_f64_e32 v[125:126], v[143:144], v[145:146]
	v_add_f64_e32 v[135:136], v[127:128], v[129:130]
	;; [unrolled: 1-line block ×4, first 2 shown]
	v_fma_f64 v[115:116], v[54:55], s[20:21], v[147:148]
	v_fma_f64 v[127:128], v[137:138], s[10:11], v[157:158]
	;; [unrolled: 1-line block ×6, first 2 shown]
	v_mul_f64_e32 v[143:144], s[6:7], v[76:77]
	v_mul_f64_e32 v[145:146], s[14:15], v[78:79]
	;; [unrolled: 1-line block ×6, first 2 shown]
	v_fma_f64 v[123:124], v[135:136], s[14:15], v[115:116]
	v_fma_f64 v[115:116], v[119:120], s[14:15], v[127:128]
	;; [unrolled: 1-line block ×7, first 2 shown]
	v_fma_f64 v[127:128], v[70:71], s[6:7], -v[145:146]
	v_fma_f64 v[129:130], v[165:166], s[10:11], -v[147:148]
	v_fma_f64 v[143:144], v[76:77], s[14:15], v[157:158]
	v_fma_f64 v[145:146], v[78:79], s[18:19], -v[159:160]
	v_fma_f64 v[147:148], v[163:164], s[20:21], -v[161:162]
	v_add_f64_e64 v[76:77], v[115:116], -v[125:126]
	v_add_f64_e64 v[68:69], v[119:120], -v[127:128]
	;; [unrolled: 1-line block ×6, first 2 shown]
	s_and_saveexec_b32 s1, s0
	s_cbranch_execz .LBB0_11
; %bb.10:
	v_mul_f64_e32 v[117:118], s[6:7], v[117:118]
	v_mul_f64_e32 v[121:122], s[6:7], v[121:122]
	v_mul_f64_e32 v[113:114], s[10:11], v[113:114]
	v_mul_f64_e32 v[100:101], s[10:11], v[100:101]
	v_add_f64_e32 v[38:39], v[38:39], v[98:99]
	v_add_f64_e32 v[58:59], v[58:59], v[90:91]
	;; [unrolled: 1-line block ×4, first 2 shown]
	v_mul_f64_e32 v[88:89], s[6:7], v[102:103]
	v_mul_f64_e32 v[90:91], s[14:15], v[109:110]
	;; [unrolled: 1-line block ×5, first 2 shown]
	v_add_f64_e32 v[105:106], v[105:106], v[117:118]
	v_add_f64_e64 v[107:108], v[107:108], -v[121:122]
	v_mul_f64_e32 v[117:118], s[6:7], v[137:138]
	v_add_f64_e32 v[38:39], v[38:39], v[94:95]
	v_add_f64_e32 v[58:59], v[58:59], v[86:87]
	;; [unrolled: 1-line block ×4, first 2 shown]
	v_add_f64_e64 v[52:53], v[52:53], -v[88:89]
	v_mul_f64_e32 v[88:89], s[14:15], v[135:136]
	v_add_f64_e32 v[96:97], v[113:114], v[105:106]
	v_add_f64_e64 v[100:101], v[107:108], -v[100:101]
	v_add_f64_e32 v[48:49], v[48:49], v[117:118]
	v_add_f64_e32 v[38:39], v[38:39], v[46:47]
	;; [unrolled: 1-line block ×5, first 2 shown]
	v_mul_f64_e32 v[56:57], s[14:15], v[131:132]
	v_add_f64_e64 v[50:51], v[52:53], -v[50:51]
	v_add_f64_e32 v[84:85], v[90:91], v[96:97]
	v_add_f64_e32 v[86:87], v[98:99], v[100:101]
	;; [unrolled: 1-line block ×14, first 2 shown]
	v_mul_f64_e32 v[52:53], s[10:11], v[84:85]
	v_mul_f64_e32 v[54:55], s[10:11], v[86:87]
	v_add_f64_e64 v[50:51], v[58:59], -v[72:73]
	s_delay_alu instid0(VALU_DEP_3) | instskip(SKIP_1) | instid1(VALU_DEP_4)
	v_fma_f64 v[82:83], v[86:87], s[16:17], -v[52:53]
	v_add_f64_e32 v[86:87], v[88:89], v[48:49]
	v_fma_f64 v[84:85], v[84:85], s[16:17], v[54:55]
	v_add_f64_e64 v[48:49], v[74:75], -v[80:81]
	v_add_f64_e32 v[54:55], v[58:59], v[72:73]
	v_add_f64_e32 v[52:53], v[74:75], v[80:81]
	v_mul_u32_u24_e32 v80, 0x6e, v154
	s_delay_alu instid0(VALU_DEP_1) | instskip(NEXT) | instid1(VALU_DEP_1)
	v_add_nc_u32_e32 v80, v80, v153
	v_add_lshl_u32 v80, v156, v80, 4
	v_add_f64_e32 v[74:75], v[56:57], v[82:83]
	v_add_f64_e64 v[58:59], v[56:57], -v[82:83]
	v_add_f64_e32 v[72:73], v[86:87], v[84:85]
	v_add_f64_e64 v[56:57], v[86:87], -v[84:85]
	ds_store_b128 v80, v[44:47] offset:352
	ds_store_b128 v80, v[40:43] offset:528
	;; [unrolled: 1-line block ×4, first 2 shown]
	ds_store_b128 v80, v[52:55]
	ds_store_b128 v80, v[72:75] offset:176
	ds_store_b128 v80, v[56:59] offset:1056
	;; [unrolled: 1-line block ×5, first 2 shown]
.LBB0_11:
	s_wait_alu 0xfffe
	s_or_b32 exec_lo, exec_lo, s1
	v_mad_co_u64_u32 v[48:49], null, 0x60, v149, s[4:5]
	s_load_b128 s[4:7], s[2:3], 0x0
	global_wb scope:SCOPE_SE
	s_wait_dscnt 0x0
	s_wait_kmcnt 0x0
	s_barrier_signal -1
	s_barrier_wait -1
	global_inv scope:SCOPE_SE
	s_mov_b32 s2, 0x37e14327
	s_clause 0x5
	global_load_b128 v[40:43], v[48:49], off offset:1584
	global_load_b128 v[36:39], v[48:49], off offset:1600
	;; [unrolled: 1-line block ×6, first 2 shown]
	ds_load_b128 v[72:75], v152 offset:1760
	ds_load_b128 v[80:83], v152 offset:3520
	ds_load_b128 v[84:87], v152 offset:10560
	ds_load_b128 v[88:91], v152 offset:8800
	ds_load_b128 v[92:95], v152 offset:5280
	ds_load_b128 v[96:99], v152 offset:7040
	s_mov_b32 s3, 0x3fe948f6
	s_mov_b32 s10, 0x36b3c0b5
	;; [unrolled: 1-line block ×9, first 2 shown]
	v_lshl_add_u32 v145, v149, 4, v151
	s_wait_loadcnt_dscnt 0x505
	v_mul_f64_e32 v[100:101], v[74:75], v[42:43]
	v_mul_f64_e32 v[102:103], v[72:73], v[42:43]
	s_wait_loadcnt_dscnt 0x404
	v_mul_f64_e32 v[105:106], v[82:83], v[38:39]
	v_mul_f64_e32 v[107:108], v[80:81], v[38:39]
	;; [unrolled: 3-line block ×6, first 2 shown]
	v_fma_f64 v[72:73], v[72:73], v[40:41], -v[100:101]
	v_fma_f64 v[74:75], v[74:75], v[40:41], v[102:103]
	v_fma_f64 v[80:81], v[80:81], v[36:37], -v[105:106]
	v_fma_f64 v[82:83], v[82:83], v[36:37], v[107:108]
	v_fma_f64 v[84:85], v[84:85], v[44:45], -v[109:110]
	v_fma_f64 v[86:87], v[86:87], v[44:45], v[111:112]
	v_fma_f64 v[88:89], v[88:89], v[56:57], -v[113:114]
	v_fma_f64 v[90:91], v[90:91], v[56:57], v[115:116]
	v_fma_f64 v[92:93], v[92:93], v[52:53], -v[117:118]
	v_fma_f64 v[94:95], v[94:95], v[52:53], v[119:120]
	v_fma_f64 v[96:97], v[96:97], v[48:49], -v[121:122]
	v_fma_f64 v[98:99], v[98:99], v[48:49], v[123:124]
	v_add_f64_e32 v[100:101], v[72:73], v[84:85]
	v_add_f64_e32 v[102:103], v[74:75], v[86:87]
	;; [unrolled: 1-line block ×4, first 2 shown]
	v_add_f64_e64 v[80:81], v[80:81], -v[88:89]
	v_add_f64_e64 v[82:83], v[82:83], -v[90:91]
	v_add_f64_e32 v[109:110], v[92:93], v[96:97]
	v_add_f64_e32 v[111:112], v[94:95], v[98:99]
	v_add_f64_e64 v[88:89], v[96:97], -v[92:93]
	v_add_f64_e64 v[90:91], v[98:99], -v[94:95]
	;; [unrolled: 1-line block ×4, first 2 shown]
	v_add_f64_e32 v[72:73], v[105:106], v[100:101]
	v_add_f64_e32 v[74:75], v[107:108], v[102:103]
	v_add_f64_e64 v[92:93], v[100:101], -v[109:110]
	v_add_f64_e64 v[94:95], v[102:103], -v[111:112]
	;; [unrolled: 1-line block ×10, first 2 shown]
	v_add_f64_e32 v[80:81], v[88:89], v[80:81]
	v_add_f64_e32 v[82:83], v[90:91], v[82:83]
	v_add_f64_e64 v[88:89], v[84:85], -v[88:89]
	v_add_f64_e64 v[90:91], v[86:87], -v[90:91]
	v_add_f64_e32 v[109:110], v[109:110], v[72:73]
	v_add_f64_e32 v[111:112], v[111:112], v[74:75]
	ds_load_b128 v[72:75], v152
	s_wait_alu 0xfffe
	v_mul_f64_e32 v[92:93], s[2:3], v[92:93]
	v_mul_f64_e32 v[94:95], s[2:3], v[94:95]
	s_mov_b32 s2, 0x429ad128
	v_mul_f64_e32 v[105:106], s[10:11], v[96:97]
	v_mul_f64_e32 v[107:108], s[10:11], v[98:99]
	;; [unrolled: 1-line block ×4, first 2 shown]
	s_mov_b32 s3, 0x3febfeb5
	s_mov_b32 s14, 0xaaaaaaaa
	s_wait_alu 0xfffe
	v_mul_f64_e32 v[121:122], s[2:3], v[117:118]
	v_mul_f64_e32 v[123:124], s[2:3], v[119:120]
	s_mov_b32 s15, 0xbff2aaaa
	v_add_f64_e32 v[80:81], v[80:81], v[84:85]
	v_add_f64_e32 v[82:83], v[82:83], v[86:87]
	s_wait_dscnt 0x0
	v_add_f64_e32 v[72:73], v[72:73], v[109:110]
	v_add_f64_e32 v[74:75], v[74:75], v[111:112]
	v_fma_f64 v[84:85], v[96:97], s[10:11], v[92:93]
	v_fma_f64 v[86:87], v[98:99], s[10:11], v[94:95]
	v_fma_f64 v[96:97], v[100:101], s[16:17], -v[105:106]
	v_fma_f64 v[98:99], v[102:103], s[16:17], -v[107:108]
	s_mov_b32 s17, 0xbfe77f67
	v_fma_f64 v[105:106], v[88:89], s[18:19], v[113:114]
	v_fma_f64 v[107:108], v[90:91], s[18:19], v[115:116]
	s_mov_b32 s19, 0xbfd5d0dc
	v_fma_f64 v[113:114], v[117:118], s[2:3], -v[113:114]
	v_fma_f64 v[115:116], v[119:120], s[2:3], -v[115:116]
	s_wait_alu 0xfffe
	v_fma_f64 v[88:89], v[88:89], s[18:19], -v[121:122]
	v_fma_f64 v[90:91], v[90:91], s[18:19], -v[123:124]
	;; [unrolled: 1-line block ×4, first 2 shown]
	s_mov_b32 s2, 0x37c3f68c
	s_mov_b32 s3, 0x3fdc38aa
	v_fma_f64 v[109:110], v[109:110], s[14:15], v[72:73]
	v_fma_f64 v[111:112], v[111:112], s[14:15], v[74:75]
	s_wait_alu 0xfffe
	v_fma_f64 v[105:106], v[80:81], s[2:3], v[105:106]
	v_fma_f64 v[107:108], v[82:83], s[2:3], v[107:108]
	;; [unrolled: 1-line block ×6, first 2 shown]
	v_add_f64_e32 v[117:118], v[84:85], v[109:110]
	v_add_f64_e32 v[119:120], v[86:87], v[111:112]
	;; [unrolled: 1-line block ×7, first 2 shown]
	v_add_f64_e64 v[82:83], v[119:120], -v[105:106]
	v_add_f64_e32 v[84:85], v[115:116], v[121:122]
	v_add_f64_e64 v[86:87], v[123:124], -v[113:114]
	v_add_f64_e64 v[88:89], v[92:93], -v[102:103]
	v_add_f64_e32 v[90:91], v[100:101], v[94:95]
	v_add_f64_e32 v[92:93], v[102:103], v[92:93]
	v_add_f64_e64 v[94:95], v[94:95], -v[100:101]
	v_add_f64_e64 v[100:101], v[121:122], -v[115:116]
	v_add_f64_e32 v[102:103], v[113:114], v[123:124]
	v_add_f64_e64 v[96:97], v[117:118], -v[107:108]
	v_add_f64_e32 v[98:99], v[105:106], v[119:120]
	ds_store_b128 v145, v[72:75]
	ds_store_b128 v145, v[80:83] offset:1760
	ds_store_b128 v145, v[84:87] offset:3520
	ds_store_b128 v145, v[88:91] offset:5280
	ds_store_b128 v145, v[92:95] offset:7040
	ds_store_b128 v145, v[100:103] offset:8800
	ds_store_b128 v145, v[96:99] offset:10560
	global_wb scope:SCOPE_SE
	s_wait_dscnt 0x0
	s_barrier_signal -1
	s_barrier_wait -1
	global_inv scope:SCOPE_SE
	s_and_saveexec_b32 s1, vcc_lo
	s_cbranch_execz .LBB0_13
; %bb.12:
	s_add_nc_u64 s[2:3], s[12:13], 0x3020
	s_clause 0xa
	global_load_b128 v[105:108], v150, s[12:13] offset:12320
	global_load_b128 v[109:112], v150, s[2:3] offset:1120
	;; [unrolled: 1-line block ×11, first 2 shown]
	ds_load_b128 v[160:163], v145
	ds_load_b128 v[164:167], v145 offset:1120
	ds_load_b128 v[168:171], v145 offset:2240
	;; [unrolled: 1-line block ×10, first 2 shown]
	s_wait_loadcnt_dscnt 0xa0a
	v_mul_f64_e32 v[146:147], v[162:163], v[107:108]
	v_mul_f64_e32 v[107:108], v[160:161], v[107:108]
	s_wait_loadcnt_dscnt 0x909
	v_mul_f64_e32 v[204:205], v[166:167], v[111:112]
	v_mul_f64_e32 v[111:112], v[164:165], v[111:112]
	;; [unrolled: 3-line block ×11, first 2 shown]
	v_fma_f64 v[158:159], v[160:161], v[105:106], -v[146:147]
	v_fma_f64 v[160:161], v[162:163], v[105:106], v[107:108]
	v_fma_f64 v[105:106], v[164:165], v[109:110], -v[204:205]
	v_fma_f64 v[107:108], v[166:167], v[109:110], v[111:112]
	;; [unrolled: 2-line block ×11, first 2 shown]
	ds_store_b128 v145, v[158:161]
	ds_store_b128 v145, v[105:108] offset:1120
	ds_store_b128 v145, v[109:112] offset:2240
	;; [unrolled: 1-line block ×10, first 2 shown]
.LBB0_13:
	s_wait_alu 0xfffe
	s_or_b32 exec_lo, exec_lo, s1
	global_wb scope:SCOPE_SE
	s_wait_dscnt 0x0
	s_barrier_signal -1
	s_barrier_wait -1
	global_inv scope:SCOPE_SE
	s_and_saveexec_b32 s1, vcc_lo
	s_cbranch_execz .LBB0_15
; %bb.14:
	ds_load_b128 v[72:75], v145
	ds_load_b128 v[80:83], v145 offset:1120
	ds_load_b128 v[84:87], v145 offset:2240
	;; [unrolled: 1-line block ×10, first 2 shown]
.LBB0_15:
	s_wait_alu 0xfffe
	s_or_b32 exec_lo, exec_lo, s1
	s_wait_dscnt 0x9
	v_add_f64_e32 v[105:106], v[72:73], v[80:81]
	v_add_f64_e32 v[107:108], v[74:75], v[82:83]
	s_wait_dscnt 0x4
	v_add_f64_e64 v[146:147], v[100:101], -v[96:97]
	s_wait_dscnt 0x2
	v_add_f64_e32 v[113:114], v[88:89], v[68:69]
	v_add_f64_e64 v[156:157], v[88:89], -v[68:69]
	s_wait_dscnt 0x0
	v_add_f64_e64 v[162:163], v[82:83], -v[62:63]
	s_mov_b32 s24, 0xf8bb580b
	s_mov_b32 s25, 0xbfe14ced
	v_add_f64_e32 v[115:116], v[90:91], v[70:71]
	v_add_f64_e64 v[158:159], v[84:85], -v[64:65]
	v_add_f64_e64 v[160:161], v[86:87], -v[66:67]
	v_add_f64_e32 v[117:118], v[84:85], v[64:65]
	v_add_f64_e32 v[123:124], v[80:81], v[60:61]
	s_mov_b32 s16, 0x8764f0ba
	s_mov_b32 s20, 0x8eee2c13
	;; [unrolled: 1-line block ×4, first 2 shown]
	v_add_f64_e32 v[119:120], v[86:87], v[66:67]
	v_add_f64_e64 v[164:165], v[80:81], -v[60:61]
	s_mov_b32 s18, 0xd9c712b6
	s_mov_b32 s19, 0x3fda9628
	v_add_f64_e32 v[127:128], v[82:83], v[62:63]
	s_mov_b32 s22, 0x43842ef
	s_mov_b32 s23, 0xbfefac9e
	;; [unrolled: 1-line block ×13, first 2 shown]
	s_wait_alu 0xfffe
	s_mov_b32 s30, s20
	s_mov_b32 s35, 0x3fe82f19
	;; [unrolled: 1-line block ×3, first 2 shown]
	v_add_f64_e32 v[105:106], v[105:106], v[84:85]
	v_add_f64_e32 v[107:108], v[107:108], v[86:87]
	v_mul_f64_e32 v[141:142], s[28:29], v[146:147]
	s_mov_b32 s41, 0x3fd207e7
	v_mul_f64_e32 v[135:136], s[22:23], v[156:157]
	v_mul_f64_e32 v[125:126], s[24:25], v[162:163]
	s_mov_b32 s40, s28
	s_mov_b32 s37, 0x3fefac9e
	;; [unrolled: 1-line block ×3, first 2 shown]
	v_mul_f64_e32 v[131:132], s[20:21], v[158:159]
	v_mul_f64_e32 v[121:122], s[20:21], v[160:161]
	s_mov_b32 s39, 0x3fe14ced
	s_mov_b32 s38, s24
	global_wb scope:SCOPE_SE
	s_barrier_signal -1
	s_barrier_wait -1
	global_inv scope:SCOPE_SE
	v_mul_f64_e32 v[82:83], s[10:11], v[119:120]
	v_mul_f64_e32 v[143:144], s[24:25], v[164:165]
	;; [unrolled: 1-line block ×3, first 2 shown]
	v_add_f64_e32 v[105:106], v[105:106], v[88:89]
	v_add_f64_e32 v[107:108], v[107:108], v[90:91]
	v_fma_f64 v[84:85], v[158:159], s[34:35], v[82:83]
	s_delay_alu instid0(VALU_DEP_3) | instskip(NEXT) | instid1(VALU_DEP_3)
	v_add_f64_e32 v[105:106], v[105:106], v[92:93]
	v_add_f64_e32 v[107:108], v[107:108], v[94:95]
	s_delay_alu instid0(VALU_DEP_2) | instskip(NEXT) | instid1(VALU_DEP_2)
	v_add_f64_e32 v[109:110], v[105:106], v[100:101]
	v_add_f64_e32 v[111:112], v[107:108], v[102:103]
	;; [unrolled: 1-line block ×4, first 2 shown]
	v_add_f64_e64 v[100:101], v[102:103], -v[98:99]
	v_add_f64_e64 v[102:103], v[90:91], -v[70:71]
	v_add_f64_e32 v[96:97], v[109:110], v[96:97]
	v_add_f64_e32 v[98:99], v[111:112], v[98:99]
	;; [unrolled: 1-line block ×3, first 2 shown]
	v_add_f64_e64 v[92:93], v[92:93], -v[76:77]
	v_add_f64_e32 v[111:112], v[94:95], v[78:79]
	v_add_f64_e64 v[94:95], v[94:95], -v[78:79]
	v_mul_f64_e32 v[129:130], s[22:23], v[102:103]
	v_mul_f64_e32 v[139:140], s[28:29], v[100:101]
	v_add_f64_e32 v[76:77], v[96:97], v[76:77]
	v_add_f64_e32 v[78:79], v[98:99], v[78:79]
	v_mul_f64_e32 v[137:138], s[26:27], v[92:93]
	v_mul_f64_e32 v[133:134], s[26:27], v[94:95]
	s_delay_alu instid0(VALU_DEP_4) | instskip(NEXT) | instid1(VALU_DEP_4)
	v_add_f64_e32 v[68:69], v[76:77], v[68:69]
	v_add_f64_e32 v[70:71], v[78:79], v[70:71]
	v_mul_f64_e32 v[76:77], s[20:21], v[162:163]
	v_mul_f64_e32 v[78:79], s[26:27], v[160:161]
	s_delay_alu instid0(VALU_DEP_4) | instskip(NEXT) | instid1(VALU_DEP_4)
	v_add_f64_e32 v[64:65], v[68:69], v[64:65]
	v_add_f64_e32 v[66:67], v[70:71], v[66:67]
	v_fma_f64 v[68:69], v[119:120], s[18:19], -v[131:132]
	s_delay_alu instid0(VALU_DEP_4)
	v_fma_f64 v[70:71], v[117:118], s[10:11], v[78:79]
	v_fma_f64 v[78:79], v[117:118], s[10:11], -v[78:79]
	v_add_f64_e32 v[60:61], v[64:65], v[60:61]
	v_fma_f64 v[64:65], v[123:124], s[16:17], v[125:126]
	v_add_f64_e32 v[62:63], v[66:67], v[62:63]
	v_fma_f64 v[66:67], v[117:118], s[18:19], v[121:122]
	s_delay_alu instid0(VALU_DEP_3) | instskip(NEXT) | instid1(VALU_DEP_1)
	v_add_f64_e32 v[64:65], v[72:73], v[64:65]
	v_add_f64_e32 v[64:65], v[66:67], v[64:65]
	v_fma_f64 v[66:67], v[127:128], s[16:17], -v[143:144]
	s_delay_alu instid0(VALU_DEP_1) | instskip(NEXT) | instid1(VALU_DEP_1)
	v_add_f64_e32 v[66:67], v[74:75], v[66:67]
	v_add_f64_e32 v[66:67], v[68:69], v[66:67]
	v_fma_f64 v[68:69], v[113:114], s[2:3], v[129:130]
	s_delay_alu instid0(VALU_DEP_1) | instskip(SKIP_1) | instid1(VALU_DEP_1)
	v_add_f64_e32 v[64:65], v[68:69], v[64:65]
	v_fma_f64 v[68:69], v[115:116], s[2:3], -v[135:136]
	v_add_f64_e32 v[66:67], v[68:69], v[66:67]
	v_fma_f64 v[68:69], v[109:110], s[10:11], v[133:134]
	s_delay_alu instid0(VALU_DEP_1) | instskip(SKIP_1) | instid1(VALU_DEP_1)
	v_add_f64_e32 v[64:65], v[68:69], v[64:65]
	v_fma_f64 v[68:69], v[111:112], s[10:11], -v[137:138]
	;; [unrolled: 5-line block ×3, first 2 shown]
	v_add_f64_e32 v[66:67], v[68:69], v[66:67]
	v_fma_f64 v[68:69], v[123:124], s[18:19], v[76:77]
	v_fma_f64 v[76:77], v[123:124], s[18:19], -v[76:77]
	s_delay_alu instid0(VALU_DEP_2) | instskip(NEXT) | instid1(VALU_DEP_2)
	v_add_f64_e32 v[68:69], v[72:73], v[68:69]
	v_add_f64_e32 v[76:77], v[72:73], v[76:77]
	s_delay_alu instid0(VALU_DEP_2) | instskip(SKIP_2) | instid1(VALU_DEP_3)
	v_add_f64_e32 v[68:69], v[70:71], v[68:69]
	s_wait_alu 0xfffe
	v_fma_f64 v[70:71], v[164:165], s[30:31], v[80:81]
	v_add_f64_e32 v[76:77], v[78:79], v[76:77]
	v_fma_f64 v[78:79], v[164:165], s[20:21], v[80:81]
	v_fma_f64 v[80:81], v[158:159], s[26:27], v[82:83]
	s_delay_alu instid0(VALU_DEP_4) | instskip(NEXT) | instid1(VALU_DEP_3)
	v_add_f64_e32 v[70:71], v[74:75], v[70:71]
	v_add_f64_e32 v[78:79], v[74:75], v[78:79]
	s_delay_alu instid0(VALU_DEP_2) | instskip(SKIP_1) | instid1(VALU_DEP_3)
	v_add_f64_e32 v[70:71], v[84:85], v[70:71]
	v_mul_f64_e32 v[84:85], s[40:41], v[102:103]
	v_add_f64_e32 v[78:79], v[80:81], v[78:79]
	s_delay_alu instid0(VALU_DEP_2) | instskip(SKIP_2) | instid1(VALU_DEP_3)
	v_fma_f64 v[86:87], v[113:114], s[14:15], v[84:85]
	v_fma_f64 v[80:81], v[113:114], s[14:15], -v[84:85]
	v_mul_f64_e32 v[84:85], s[2:3], v[127:128]
	v_add_f64_e32 v[68:69], v[86:87], v[68:69]
	v_mul_f64_e32 v[86:87], s[14:15], v[115:116]
	s_delay_alu instid0(VALU_DEP_4) | instskip(NEXT) | instid1(VALU_DEP_2)
	v_add_f64_e32 v[76:77], v[80:81], v[76:77]
	v_fma_f64 v[88:89], v[156:157], s[28:29], v[86:87]
	v_fma_f64 v[80:81], v[156:157], s[40:41], v[86:87]
	v_mul_f64_e32 v[86:87], s[14:15], v[119:120]
	s_delay_alu instid0(VALU_DEP_3) | instskip(SKIP_1) | instid1(VALU_DEP_4)
	v_add_f64_e32 v[70:71], v[88:89], v[70:71]
	v_mul_f64_e32 v[88:89], s[36:37], v[94:95]
	v_add_f64_e32 v[78:79], v[80:81], v[78:79]
	s_delay_alu instid0(VALU_DEP_2) | instskip(SKIP_1) | instid1(VALU_DEP_2)
	v_fma_f64 v[90:91], v[109:110], s[2:3], v[88:89]
	v_fma_f64 v[80:81], v[109:110], s[2:3], -v[88:89]
	v_add_f64_e32 v[68:69], v[90:91], v[68:69]
	v_mul_f64_e32 v[90:91], s[2:3], v[111:112]
	s_delay_alu instid0(VALU_DEP_3) | instskip(NEXT) | instid1(VALU_DEP_2)
	v_add_f64_e32 v[76:77], v[80:81], v[76:77]
	v_fma_f64 v[96:97], v[92:93], s[22:23], v[90:91]
	v_fma_f64 v[80:81], v[92:93], s[36:37], v[90:91]
	s_delay_alu instid0(VALU_DEP_2) | instskip(SKIP_1) | instid1(VALU_DEP_3)
	v_add_f64_e32 v[70:71], v[96:97], v[70:71]
	v_mul_f64_e32 v[96:97], s[38:39], v[100:101]
	v_add_f64_e32 v[78:79], v[80:81], v[78:79]
	s_delay_alu instid0(VALU_DEP_2) | instskip(SKIP_2) | instid1(VALU_DEP_3)
	v_fma_f64 v[98:99], v[105:106], s[16:17], v[96:97]
	v_fma_f64 v[80:81], v[105:106], s[16:17], -v[96:97]
	v_fma_f64 v[96:97], v[158:159], s[28:29], v[86:87]
	v_add_f64_e32 v[68:69], v[98:99], v[68:69]
	v_mul_f64_e32 v[98:99], s[16:17], v[107:108]
	s_delay_alu instid0(VALU_DEP_4) | instskip(SKIP_1) | instid1(VALU_DEP_3)
	v_add_f64_e32 v[88:89], v[80:81], v[76:77]
	v_mul_f64_e32 v[80:81], s[22:23], v[162:163]
	v_fma_f64 v[82:83], v[146:147], s[38:39], v[98:99]
	v_fma_f64 v[166:167], v[146:147], s[24:25], v[98:99]
	s_delay_alu instid0(VALU_DEP_3) | instskip(SKIP_1) | instid1(VALU_DEP_4)
	v_fma_f64 v[76:77], v[123:124], s[2:3], v[80:81]
	v_fma_f64 v[80:81], v[123:124], s[2:3], -v[80:81]
	v_add_f64_e32 v[90:91], v[82:83], v[78:79]
	v_mul_f64_e32 v[82:83], s[40:41], v[160:161]
	s_delay_alu instid0(VALU_DEP_4) | instskip(SKIP_2) | instid1(VALU_DEP_4)
	v_add_f64_e32 v[76:77], v[72:73], v[76:77]
	v_add_f64_e32 v[70:71], v[166:167], v[70:71]
	;; [unrolled: 1-line block ×3, first 2 shown]
	v_fma_f64 v[78:79], v[117:118], s[14:15], v[82:83]
	v_fma_f64 v[82:83], v[117:118], s[14:15], -v[82:83]
	s_delay_alu instid0(VALU_DEP_2) | instskip(SKIP_1) | instid1(VALU_DEP_3)
	v_add_f64_e32 v[76:77], v[78:79], v[76:77]
	v_fma_f64 v[78:79], v[164:165], s[36:37], v[84:85]
	v_add_f64_e32 v[80:81], v[82:83], v[80:81]
	v_fma_f64 v[82:83], v[164:165], s[22:23], v[84:85]
	v_fma_f64 v[84:85], v[158:159], s[40:41], v[86:87]
	s_delay_alu instid0(VALU_DEP_4) | instskip(NEXT) | instid1(VALU_DEP_3)
	v_add_f64_e32 v[78:79], v[74:75], v[78:79]
	v_add_f64_e32 v[82:83], v[74:75], v[82:83]
	s_delay_alu instid0(VALU_DEP_2) | instskip(SKIP_1) | instid1(VALU_DEP_3)
	v_add_f64_e32 v[78:79], v[96:97], v[78:79]
	v_mul_f64_e32 v[96:97], s[30:31], v[102:103]
	v_add_f64_e32 v[82:83], v[84:85], v[82:83]
	s_delay_alu instid0(VALU_DEP_2) | instskip(SKIP_3) | instid1(VALU_DEP_4)
	v_fma_f64 v[98:99], v[113:114], s[18:19], v[96:97]
	v_fma_f64 v[84:85], v[113:114], s[18:19], -v[96:97]
	v_mul_f64_e32 v[96:97], s[26:27], v[162:163]
	v_mul_f64_e32 v[162:163], s[28:29], v[162:163]
	v_add_f64_e32 v[76:77], v[98:99], v[76:77]
	v_mul_f64_e32 v[98:99], s[18:19], v[115:116]
	v_add_f64_e32 v[80:81], v[84:85], v[80:81]
	s_delay_alu instid0(VALU_DEP_2) | instskip(SKIP_3) | instid1(VALU_DEP_4)
	v_fma_f64 v[166:167], v[156:157], s[20:21], v[98:99]
	v_fma_f64 v[84:85], v[156:157], s[30:31], v[98:99]
	v_mul_f64_e32 v[98:99], s[36:37], v[160:161]
	v_mul_f64_e32 v[160:161], s[38:39], v[160:161]
	v_add_f64_e32 v[78:79], v[166:167], v[78:79]
	v_mul_f64_e32 v[166:167], s[24:25], v[94:95]
	v_add_f64_e32 v[82:83], v[84:85], v[82:83]
	s_delay_alu instid0(VALU_DEP_2) | instskip(SKIP_2) | instid1(VALU_DEP_3)
	v_fma_f64 v[168:169], v[109:110], s[16:17], v[166:167]
	v_fma_f64 v[84:85], v[109:110], s[16:17], -v[166:167]
	v_mul_f64_e32 v[166:167], s[10:11], v[127:128]
	v_add_f64_e32 v[76:77], v[168:169], v[76:77]
	v_mul_f64_e32 v[168:169], s[16:17], v[111:112]
	s_delay_alu instid0(VALU_DEP_4) | instskip(NEXT) | instid1(VALU_DEP_2)
	v_add_f64_e32 v[80:81], v[84:85], v[80:81]
	v_fma_f64 v[170:171], v[92:93], s[38:39], v[168:169]
	v_fma_f64 v[84:85], v[92:93], s[24:25], v[168:169]
	v_mul_f64_e32 v[168:169], s[2:3], v[119:120]
	s_delay_alu instid0(VALU_DEP_3) | instskip(SKIP_1) | instid1(VALU_DEP_4)
	v_add_f64_e32 v[78:79], v[170:171], v[78:79]
	v_mul_f64_e32 v[170:171], s[26:27], v[100:101]
	v_add_f64_e32 v[82:83], v[84:85], v[82:83]
	s_delay_alu instid0(VALU_DEP_2) | instskip(SKIP_2) | instid1(VALU_DEP_3)
	v_fma_f64 v[172:173], v[105:106], s[10:11], v[170:171]
	v_fma_f64 v[84:85], v[105:106], s[10:11], -v[170:171]
	v_fma_f64 v[170:171], v[158:159], s[22:23], v[168:169]
	v_add_f64_e32 v[76:77], v[172:173], v[76:77]
	v_mul_f64_e32 v[172:173], s[10:11], v[107:108]
	s_delay_alu instid0(VALU_DEP_4) | instskip(SKIP_2) | instid1(VALU_DEP_4)
	v_add_f64_e32 v[84:85], v[84:85], v[80:81]
	v_fma_f64 v[80:81], v[123:124], s[10:11], v[96:97]
	v_fma_f64 v[96:97], v[123:124], s[10:11], -v[96:97]
	v_fma_f64 v[86:87], v[146:147], s[26:27], v[172:173]
	v_fma_f64 v[174:175], v[146:147], s[34:35], v[172:173]
	s_delay_alu instid0(VALU_DEP_4) | instskip(NEXT) | instid1(VALU_DEP_4)
	v_add_f64_e32 v[80:81], v[72:73], v[80:81]
	v_add_f64_e32 v[96:97], v[72:73], v[96:97]
	s_delay_alu instid0(VALU_DEP_4) | instskip(SKIP_3) | instid1(VALU_DEP_3)
	v_add_f64_e32 v[86:87], v[86:87], v[82:83]
	v_fma_f64 v[82:83], v[117:118], s[2:3], v[98:99]
	v_add_f64_e32 v[78:79], v[174:175], v[78:79]
	v_fma_f64 v[98:99], v[117:118], s[2:3], -v[98:99]
	v_add_f64_e32 v[80:81], v[82:83], v[80:81]
	v_fma_f64 v[82:83], v[164:165], s[34:35], v[166:167]
	s_delay_alu instid0(VALU_DEP_3) | instskip(SKIP_2) | instid1(VALU_DEP_4)
	v_add_f64_e32 v[96:97], v[98:99], v[96:97]
	v_fma_f64 v[98:99], v[164:165], s[26:27], v[166:167]
	v_fma_f64 v[166:167], v[158:159], s[36:37], v[168:169]
	v_add_f64_e32 v[82:83], v[74:75], v[82:83]
	s_delay_alu instid0(VALU_DEP_3) | instskip(NEXT) | instid1(VALU_DEP_2)
	v_add_f64_e32 v[98:99], v[74:75], v[98:99]
	v_add_f64_e32 v[82:83], v[170:171], v[82:83]
	v_mul_f64_e32 v[170:171], s[24:25], v[102:103]
	s_delay_alu instid0(VALU_DEP_3) | instskip(NEXT) | instid1(VALU_DEP_2)
	v_add_f64_e32 v[98:99], v[166:167], v[98:99]
	v_fma_f64 v[172:173], v[113:114], s[16:17], v[170:171]
	v_fma_f64 v[166:167], v[113:114], s[16:17], -v[170:171]
	s_delay_alu instid0(VALU_DEP_2) | instskip(SKIP_1) | instid1(VALU_DEP_3)
	v_add_f64_e32 v[80:81], v[172:173], v[80:81]
	v_mul_f64_e32 v[172:173], s[16:17], v[115:116]
	v_add_f64_e32 v[96:97], v[166:167], v[96:97]
	s_delay_alu instid0(VALU_DEP_2) | instskip(SKIP_2) | instid1(VALU_DEP_3)
	v_fma_f64 v[174:175], v[156:157], s[38:39], v[172:173]
	v_fma_f64 v[166:167], v[156:157], s[24:25], v[172:173]
	v_mul_f64_e32 v[172:173], s[16:17], v[119:120]
	v_add_f64_e32 v[82:83], v[174:175], v[82:83]
	v_mul_f64_e32 v[174:175], s[28:29], v[94:95]
	s_delay_alu instid0(VALU_DEP_4) | instskip(SKIP_1) | instid1(VALU_DEP_3)
	v_add_f64_e32 v[98:99], v[166:167], v[98:99]
	v_mul_f64_e32 v[94:95], s[30:31], v[94:95]
	v_fma_f64 v[176:177], v[109:110], s[14:15], v[174:175]
	v_fma_f64 v[166:167], v[109:110], s[14:15], -v[174:175]
	v_fma_f64 v[174:175], v[158:159], s[24:25], v[172:173]
	v_fma_f64 v[158:159], v[158:159], s[38:39], v[172:173]
	s_delay_alu instid0(VALU_DEP_4) | instskip(SKIP_2) | instid1(VALU_DEP_2)
	v_add_f64_e32 v[80:81], v[176:177], v[80:81]
	v_mul_f64_e32 v[176:177], s[14:15], v[111:112]
	v_add_f64_e32 v[96:97], v[166:167], v[96:97]
	v_fma_f64 v[178:179], v[92:93], s[40:41], v[176:177]
	v_fma_f64 v[166:167], v[92:93], s[28:29], v[176:177]
	s_delay_alu instid0(VALU_DEP_2) | instskip(SKIP_1) | instid1(VALU_DEP_3)
	v_add_f64_e32 v[82:83], v[178:179], v[82:83]
	v_mul_f64_e32 v[178:179], s[30:31], v[100:101]
	v_add_f64_e32 v[98:99], v[166:167], v[98:99]
	s_delay_alu instid0(VALU_DEP_2) | instskip(SKIP_1) | instid1(VALU_DEP_2)
	v_fma_f64 v[180:181], v[105:106], s[18:19], v[178:179]
	v_fma_f64 v[166:167], v[105:106], s[18:19], -v[178:179]
	v_add_f64_e32 v[80:81], v[180:181], v[80:81]
	v_mul_f64_e32 v[180:181], s[18:19], v[107:108]
	s_delay_alu instid0(VALU_DEP_3) | instskip(SKIP_2) | instid1(VALU_DEP_4)
	v_add_f64_e32 v[96:97], v[166:167], v[96:97]
	v_fma_f64 v[166:167], v[123:124], s[14:15], v[162:163]
	v_fma_f64 v[162:163], v[123:124], s[14:15], -v[162:163]
	v_fma_f64 v[168:169], v[146:147], s[30:31], v[180:181]
	v_fma_f64 v[182:183], v[146:147], s[20:21], v[180:181]
	s_delay_alu instid0(VALU_DEP_4) | instskip(NEXT) | instid1(VALU_DEP_4)
	v_add_f64_e32 v[166:167], v[72:73], v[166:167]
	v_add_f64_e32 v[162:163], v[72:73], v[162:163]
	v_mul_f64_e32 v[180:181], s[2:3], v[107:108]
	v_add_f64_e32 v[98:99], v[168:169], v[98:99]
	v_fma_f64 v[168:169], v[117:118], s[16:17], v[160:161]
	v_fma_f64 v[160:161], v[117:118], s[16:17], -v[160:161]
	v_add_f64_e32 v[82:83], v[182:183], v[82:83]
	s_delay_alu instid0(VALU_DEP_3) | instskip(SKIP_1) | instid1(VALU_DEP_4)
	v_add_f64_e32 v[166:167], v[168:169], v[166:167]
	v_mul_f64_e32 v[168:169], s[14:15], v[127:128]
	v_add_f64_e32 v[160:161], v[160:161], v[162:163]
	s_delay_alu instid0(VALU_DEP_2) | instskip(SKIP_1) | instid1(VALU_DEP_2)
	v_fma_f64 v[170:171], v[164:165], s[40:41], v[168:169]
	v_fma_f64 v[164:165], v[164:165], s[28:29], v[168:169]
	v_add_f64_e32 v[170:171], v[74:75], v[170:171]
	s_delay_alu instid0(VALU_DEP_2) | instskip(NEXT) | instid1(VALU_DEP_2)
	v_add_f64_e32 v[162:163], v[74:75], v[164:165]
	v_add_f64_e32 v[170:171], v[174:175], v[170:171]
	v_mul_f64_e32 v[174:175], s[26:27], v[102:103]
	s_delay_alu instid0(VALU_DEP_3) | instskip(NEXT) | instid1(VALU_DEP_2)
	v_add_f64_e32 v[158:159], v[158:159], v[162:163]
	v_fma_f64 v[102:103], v[113:114], s[10:11], v[174:175]
	v_fma_f64 v[162:163], v[113:114], s[10:11], -v[174:175]
	s_delay_alu instid0(VALU_DEP_2) | instskip(SKIP_1) | instid1(VALU_DEP_3)
	v_add_f64_e32 v[102:103], v[102:103], v[166:167]
	v_mul_f64_e32 v[166:167], s[10:11], v[115:116]
	v_add_f64_e32 v[160:161], v[162:163], v[160:161]
	s_delay_alu instid0(VALU_DEP_2) | instskip(SKIP_1) | instid1(VALU_DEP_2)
	v_fma_f64 v[176:177], v[156:157], s[34:35], v[166:167]
	v_fma_f64 v[156:157], v[156:157], s[26:27], v[166:167]
	v_add_f64_e32 v[170:171], v[176:177], v[170:171]
	v_fma_f64 v[176:177], v[109:110], s[18:19], v[94:95]
	s_delay_alu instid0(VALU_DEP_3) | instskip(SKIP_1) | instid1(VALU_DEP_3)
	v_add_f64_e32 v[156:157], v[156:157], v[158:159]
	v_fma_f64 v[94:95], v[109:110], s[18:19], -v[94:95]
	v_add_f64_e32 v[102:103], v[176:177], v[102:103]
	v_mul_f64_e32 v[176:177], s[18:19], v[111:112]
	s_delay_alu instid0(VALU_DEP_3) | instskip(NEXT) | instid1(VALU_DEP_2)
	v_add_f64_e32 v[94:95], v[94:95], v[160:161]
	v_fma_f64 v[178:179], v[92:93], s[20:21], v[176:177]
	v_fma_f64 v[92:93], v[92:93], s[30:31], v[176:177]
	s_delay_alu instid0(VALU_DEP_2) | instskip(SKIP_1) | instid1(VALU_DEP_3)
	v_add_f64_e32 v[170:171], v[178:179], v[170:171]
	v_mul_f64_e32 v[178:179], s[22:23], v[100:101]
	v_add_f64_e32 v[156:157], v[92:93], v[156:157]
	s_delay_alu instid0(VALU_DEP_2) | instskip(SKIP_1) | instid1(VALU_DEP_2)
	v_fma_f64 v[100:101], v[105:106], s[2:3], v[178:179]
	v_fma_f64 v[92:93], v[105:106], s[2:3], -v[178:179]
	v_add_f64_e32 v[100:101], v[100:101], v[102:103]
	v_fma_f64 v[102:103], v[146:147], s[36:37], v[180:181]
	v_fma_f64 v[146:147], v[146:147], s[22:23], v[180:181]
	s_delay_alu instid0(VALU_DEP_4) | instskip(NEXT) | instid1(VALU_DEP_3)
	v_add_f64_e32 v[92:93], v[92:93], v[94:95]
	v_add_f64_e32 v[102:103], v[102:103], v[170:171]
	s_delay_alu instid0(VALU_DEP_3)
	v_add_f64_e32 v[94:95], v[146:147], v[156:157]
	s_and_saveexec_b32 s1, vcc_lo
	s_cbranch_execz .LBB0_17
; %bb.16:
	v_mul_f64_e32 v[127:128], s[16:17], v[127:128]
	v_mul_f64_e32 v[123:124], s[16:17], v[123:124]
	;; [unrolled: 1-line block ×10, first 2 shown]
	v_add_f64_e32 v[127:128], v[143:144], v[127:128]
	v_add_f64_e64 v[123:124], v[123:124], -v[125:126]
	v_add_f64_e32 v[119:120], v[131:132], v[119:120]
	v_add_f64_e64 v[117:118], v[117:118], -v[121:122]
	v_add_f64_e64 v[113:114], v[113:114], -v[129:130]
	v_add_f64_e32 v[115:116], v[135:136], v[115:116]
	v_add_f64_e64 v[109:110], v[109:110], -v[133:134]
	v_add_f64_e32 v[111:112], v[137:138], v[111:112]
	;; [unrolled: 2-line block ×3, first 2 shown]
	v_add_f64_e32 v[74:75], v[74:75], v[127:128]
	v_add_f64_e32 v[72:73], v[72:73], v[123:124]
	s_delay_alu instid0(VALU_DEP_2) | instskip(NEXT) | instid1(VALU_DEP_2)
	v_add_f64_e32 v[74:75], v[119:120], v[74:75]
	v_add_f64_e32 v[72:73], v[117:118], v[72:73]
	s_delay_alu instid0(VALU_DEP_2) | instskip(NEXT) | instid1(VALU_DEP_2)
	;; [unrolled: 3-line block ×4, first 2 shown]
	v_add_f64_e32 v[74:75], v[107:108], v[74:75]
	v_add_f64_e32 v[72:73], v[105:106], v[72:73]
	v_and_b32_e32 v105, 0xffff, v155
	s_delay_alu instid0(VALU_DEP_1)
	v_lshl_add_u32 v105, v105, 4, v151
	ds_store_b128 v105, v[60:63]
	ds_store_b128 v105, v[64:67] offset:16
	ds_store_b128 v105, v[68:71] offset:32
	;; [unrolled: 1-line block ×10, first 2 shown]
.LBB0_17:
	s_wait_alu 0xfffe
	s_or_b32 exec_lo, exec_lo, s1
	global_wb scope:SCOPE_SE
	s_wait_dscnt 0x0
	s_barrier_signal -1
	s_barrier_wait -1
	global_inv scope:SCOPE_SE
	s_and_saveexec_b32 s1, s0
	s_cbranch_execz .LBB0_19
; %bb.18:
	ds_load_b128 v[60:63], v152
	ds_load_b128 v[64:67], v152 offset:1232
	ds_load_b128 v[68:71], v152 offset:2464
	;; [unrolled: 1-line block ×9, first 2 shown]
.LBB0_19:
	s_wait_alu 0xfffe
	s_or_b32 exec_lo, exec_lo, s1
	global_wb scope:SCOPE_SE
	s_wait_dscnt 0x0
	s_barrier_signal -1
	s_barrier_wait -1
	global_inv scope:SCOPE_SE
	s_and_saveexec_b32 s16, s0
	s_cbranch_execz .LBB0_21
; %bb.20:
	v_mul_f64_e32 v[72:73], v[2:3], v[76:77]
	v_mul_f64_e32 v[74:75], v[26:27], v[100:101]
	;; [unrolled: 1-line block ×10, first 2 shown]
	s_mov_b32 s2, 0x134454ff
	s_mov_b32 s3, 0xbfee6f0e
	;; [unrolled: 1-line block ×3, first 2 shown]
	s_wait_alu 0xfffe
	s_mov_b32 s0, s2
	s_mov_b32 s14, 0x4755a5e
	;; [unrolled: 1-line block ×4, first 2 shown]
	s_wait_alu 0xfffe
	s_mov_b32 s10, s14
	s_mov_b32 s18, 0x372fe950
	;; [unrolled: 1-line block ×7, first 2 shown]
	s_wait_alu 0xfffe
	s_mov_b32 s22, s18
	s_mov_b32 s24, s20
	v_fma_f64 v[72:73], v[0:1], v[78:79], -v[72:73]
	v_fma_f64 v[74:75], v[24:25], v[102:103], -v[74:75]
	;; [unrolled: 1-line block ×4, first 2 shown]
	v_mul_f64_e32 v[98:99], v[18:19], v[68:69]
	v_mul_f64_e32 v[102:103], v[10:11], v[80:81]
	;; [unrolled: 1-line block ×8, first 2 shown]
	v_fma_f64 v[0:1], v[0:1], v[76:77], v[2:3]
	v_fma_f64 v[2:3], v[24:25], v[100:101], v[26:27]
	;; [unrolled: 1-line block ×4, first 2 shown]
	v_fma_f64 v[28:29], v[4:5], v[66:67], -v[109:110]
	v_fma_f64 v[4:5], v[4:5], v[64:65], v[6:7]
	v_add_f64_e32 v[30:31], v[74:75], v[78:79]
	v_add_f64_e32 v[32:33], v[72:73], v[90:91]
	v_fma_f64 v[70:71], v[16:17], v[70:71], -v[98:99]
	v_fma_f64 v[34:35], v[8:9], v[82:83], -v[102:103]
	;; [unrolled: 1-line block ×4, first 2 shown]
	v_fma_f64 v[16:17], v[16:17], v[68:69], v[18:19]
	v_fma_f64 v[18:19], v[20:21], v[84:85], v[22:23]
	;; [unrolled: 1-line block ×4, first 2 shown]
	v_add_f64_e64 v[64:65], v[72:73], -v[90:91]
	v_add_f64_e64 v[68:69], v[74:75], -v[78:79]
	v_add_f64_e32 v[6:7], v[2:3], v[24:25]
	v_add_f64_e64 v[12:13], v[0:1], -v[26:27]
	v_add_f64_e32 v[14:15], v[0:1], v[26:27]
	v_add_f64_e64 v[20:21], v[2:3], -v[24:25]
	v_add_f64_e64 v[80:81], v[72:73], -v[74:75]
	;; [unrolled: 1-line block ×7, first 2 shown]
	v_add_f64_e32 v[0:1], v[4:5], v[0:1]
	v_add_f64_e64 v[107:108], v[26:27], -v[24:25]
	v_add_f64_e64 v[111:112], v[24:25], -v[26:27]
	v_fma_f64 v[22:23], v[30:31], -0.5, v[28:29]
	v_fma_f64 v[30:31], v[32:33], -0.5, v[28:29]
	v_add_f64_e32 v[113:114], v[62:63], v[70:71]
	v_add_f64_e32 v[28:29], v[28:29], v[72:73]
	;; [unrolled: 1-line block ×6, first 2 shown]
	v_add_f64_e64 v[100:101], v[16:17], -v[18:19]
	v_add_f64_e32 v[92:93], v[8:9], v[10:11]
	v_add_f64_e64 v[102:103], v[8:9], -v[10:11]
	v_add_f64_e64 v[72:73], v[70:71], -v[76:77]
	v_fma_f64 v[6:7], v[6:7], -0.5, v[4:5]
	v_add_f64_e64 v[115:116], v[34:35], -v[66:67]
	v_fma_f64 v[14:15], v[14:15], -0.5, v[4:5]
	v_add_f64_e64 v[119:120], v[10:11], -v[18:19]
	v_add_f64_e32 v[0:1], v[0:1], v[2:3]
	v_add_f64_e32 v[105:106], v[105:106], v[107:108]
	;; [unrolled: 1-line block ×3, first 2 shown]
	v_fma_f64 v[96:97], v[12:13], s[2:3], v[22:23]
	v_fma_f64 v[98:99], v[20:21], s[0:1], v[30:31]
	v_fma_f64 v[30:31], v[20:21], s[2:3], v[30:31]
	v_fma_f64 v[22:23], v[12:13], s[0:1], v[22:23]
	v_fma_f64 v[4:5], v[32:33], -0.5, v[62:63]
	v_fma_f64 v[32:33], v[84:85], -0.5, v[62:63]
	v_add_f64_e32 v[62:63], v[80:81], v[82:83]
	v_add_f64_e32 v[80:81], v[86:87], v[88:89]
	;; [unrolled: 1-line block ×3, first 2 shown]
	v_fma_f64 v[82:83], v[92:93], -0.5, v[60:61]
	v_fma_f64 v[60:61], v[94:95], -0.5, v[60:61]
	v_add_f64_e64 v[94:95], v[66:67], -v[76:77]
	v_fma_f64 v[84:85], v[64:65], s[0:1], v[6:7]
	v_fma_f64 v[6:7], v[64:65], s[2:3], v[6:7]
	;; [unrolled: 1-line block ×4, first 2 shown]
	v_add_f64_e32 v[0:1], v[0:1], v[24:25]
	v_fma_f64 v[88:89], v[20:21], s[14:15], v[96:97]
	v_fma_f64 v[92:93], v[12:13], s[14:15], v[98:99]
	;; [unrolled: 1-line block ×4, first 2 shown]
	v_add_f64_e64 v[22:23], v[70:71], -v[34:35]
	v_add_f64_e64 v[70:71], v[34:35], -v[70:71]
	;; [unrolled: 1-line block ×4, first 2 shown]
	v_add_f64_e32 v[34:35], v[113:114], v[34:35]
	v_add_f64_e32 v[8:9], v[117:118], v[8:9]
	v_add_f64_e64 v[30:31], v[76:77], -v[66:67]
	v_add_f64_e64 v[98:99], v[18:19], -v[10:11]
	v_fma_f64 v[2:3], v[100:101], s[2:3], v[4:5]
	v_fma_f64 v[74:75], v[102:103], s[0:1], v[32:33]
	;; [unrolled: 1-line block ×11, first 2 shown]
	v_add_f64_e32 v[28:29], v[28:29], v[78:79]
	v_fma_f64 v[64:65], v[62:63], s[18:19], v[88:89]
	v_fma_f64 v[88:89], v[80:81], s[18:19], v[92:93]
	;; [unrolled: 1-line block ×5, first 2 shown]
	v_add_f64_e32 v[16:17], v[16:17], v[119:120]
	v_add_f64_e32 v[34:35], v[34:35], v[66:67]
	;; [unrolled: 1-line block ×6, first 2 shown]
	v_fma_f64 v[2:3], v[102:103], s[14:15], v[2:3]
	v_fma_f64 v[10:11], v[100:101], s[14:15], v[74:75]
	;; [unrolled: 1-line block ×11, first 2 shown]
	v_add_f64_e32 v[28:29], v[28:29], v[90:91]
	v_mul_f64_e32 v[74:75], s[20:21], v[64:65]
	s_wait_alu 0xfffe
	v_mul_f64_e32 v[78:79], s[22:23], v[88:89]
	v_mul_f64_e32 v[82:83], s[18:19], v[12:13]
	v_fma_f64 v[72:73], v[115:116], s[14:15], v[80:81]
	v_mul_f64_e32 v[80:81], s[24:25], v[20:21]
	v_mul_f64_e32 v[20:21], s[14:15], v[20:21]
	;; [unrolled: 1-line block ×5, first 2 shown]
	v_add_f64_e32 v[34:35], v[34:35], v[76:77]
	v_add_f64_e32 v[8:9], v[8:9], v[18:19]
	;; [unrolled: 1-line block ×3, first 2 shown]
	v_fma_f64 v[26:27], v[22:23], s[18:19], v[2:3]
	v_fma_f64 v[76:77], v[30:31], s[18:19], v[10:11]
	;; [unrolled: 1-line block ×16, first 2 shown]
	v_add_f64_e32 v[6:7], v[34:35], v[28:29]
	v_add_f64_e64 v[2:3], v[34:35], -v[28:29]
	v_add_f64_e32 v[4:5], v[8:9], v[18:19]
	v_add_f64_e64 v[0:1], v[8:9], -v[18:19]
	v_add_f64_e64 v[10:11], v[26:27], -v[22:23]
	;; [unrolled: 1-line block ×4, first 2 shown]
	v_add_f64_e32 v[22:23], v[26:27], v[22:23]
	v_add_f64_e32 v[26:27], v[76:77], v[30:31]
	;; [unrolled: 1-line block ×8, first 2 shown]
	v_add_f64_e64 v[62:63], v[86:87], -v[62:63]
	v_add_f64_e64 v[60:61], v[60:61], -v[72:73]
	;; [unrolled: 1-line block ×5, first 2 shown]
	v_mul_u32_u24_e32 v64, 0x6e, v154
	s_delay_alu instid0(VALU_DEP_1) | instskip(NEXT) | instid1(VALU_DEP_1)
	v_add_nc_u32_e32 v64, v64, v153
	v_lshl_add_u32 v64, v64, 4, v151
	ds_store_b128 v64, v[4:7]
	ds_store_b128 v64, v[32:35] offset:176
	ds_store_b128 v64, v[28:31] offset:352
	;; [unrolled: 1-line block ×9, first 2 shown]
.LBB0_21:
	s_wait_alu 0xfffe
	s_or_b32 exec_lo, exec_lo, s16
	global_wb scope:SCOPE_SE
	s_wait_dscnt 0x0
	s_barrier_signal -1
	s_barrier_wait -1
	global_inv scope:SCOPE_SE
	ds_load_b128 v[0:3], v152 offset:1760
	ds_load_b128 v[4:7], v152 offset:3520
	;; [unrolled: 1-line block ×6, first 2 shown]
	s_mov_b32 s0, 0x37e14327
	s_mov_b32 s1, 0x3fe948f6
	;; [unrolled: 1-line block ×10, first 2 shown]
	s_wait_dscnt 0x5
	v_mul_f64_e32 v[24:25], v[42:43], v[2:3]
	v_mul_f64_e32 v[26:27], v[42:43], v[0:1]
	s_wait_dscnt 0x4
	v_mul_f64_e32 v[28:29], v[38:39], v[6:7]
	v_mul_f64_e32 v[30:31], v[38:39], v[4:5]
	;; [unrolled: 3-line block ×6, first 2 shown]
	v_fma_f64 v[0:1], v[40:41], v[0:1], v[24:25]
	v_fma_f64 v[2:3], v[40:41], v[2:3], -v[26:27]
	v_fma_f64 v[4:5], v[36:37], v[4:5], v[28:29]
	v_fma_f64 v[6:7], v[36:37], v[6:7], -v[30:31]
	;; [unrolled: 2-line block ×6, first 2 shown]
	v_add_f64_e32 v[24:25], v[0:1], v[8:9]
	v_add_f64_e32 v[26:27], v[2:3], v[10:11]
	;; [unrolled: 1-line block ×4, first 2 shown]
	v_add_f64_e64 v[4:5], v[4:5], -v[12:13]
	v_add_f64_e64 v[6:7], v[6:7], -v[14:15]
	v_add_f64_e32 v[32:33], v[16:17], v[20:21]
	v_add_f64_e32 v[34:35], v[18:19], v[22:23]
	v_add_f64_e64 v[12:13], v[20:21], -v[16:17]
	v_add_f64_e64 v[14:15], v[22:23], -v[18:19]
	;; [unrolled: 1-line block ×4, first 2 shown]
	v_add_f64_e32 v[0:1], v[28:29], v[24:25]
	v_add_f64_e32 v[2:3], v[30:31], v[26:27]
	v_add_f64_e64 v[16:17], v[24:25], -v[32:33]
	v_add_f64_e64 v[18:19], v[26:27], -v[34:35]
	;; [unrolled: 1-line block ×10, first 2 shown]
	v_add_f64_e32 v[4:5], v[12:13], v[4:5]
	v_add_f64_e32 v[6:7], v[14:15], v[6:7]
	v_add_f64_e64 v[12:13], v[8:9], -v[12:13]
	v_add_f64_e64 v[14:15], v[10:11], -v[14:15]
	v_add_f64_e32 v[32:33], v[32:33], v[0:1]
	v_add_f64_e32 v[34:35], v[34:35], v[2:3]
	ds_load_b128 v[0:3], v152
	s_wait_alu 0xfffe
	v_mul_f64_e32 v[16:17], s[0:1], v[16:17]
	v_mul_f64_e32 v[18:19], s[0:1], v[18:19]
	s_mov_b32 s0, 0x429ad128
	v_mul_f64_e32 v[28:29], s[2:3], v[20:21]
	v_mul_f64_e32 v[30:31], s[2:3], v[22:23]
	;; [unrolled: 1-line block ×4, first 2 shown]
	s_mov_b32 s1, 0xbfebfeb5
	s_mov_b32 s10, 0xaaaaaaaa
	s_wait_alu 0xfffe
	v_mul_f64_e32 v[44:45], s[0:1], v[40:41]
	v_mul_f64_e32 v[46:47], s[0:1], v[42:43]
	s_mov_b32 s11, 0xbff2aaaa
	v_add_f64_e32 v[4:5], v[4:5], v[8:9]
	v_add_f64_e32 v[6:7], v[6:7], v[10:11]
	s_wait_dscnt 0x0
	v_add_f64_e32 v[0:1], v[0:1], v[32:33]
	v_add_f64_e32 v[2:3], v[2:3], v[34:35]
	v_fma_f64 v[8:9], v[20:21], s[2:3], v[16:17]
	v_fma_f64 v[10:11], v[22:23], s[2:3], v[18:19]
	v_fma_f64 v[20:21], v[24:25], s[14:15], -v[28:29]
	v_fma_f64 v[22:23], v[26:27], s[14:15], -v[30:31]
	s_mov_b32 s15, 0xbfe77f67
	v_fma_f64 v[28:29], v[12:13], s[16:17], v[36:37]
	v_fma_f64 v[30:31], v[14:15], s[16:17], v[38:39]
	s_mov_b32 s17, 0x3fd5d0dc
	v_fma_f64 v[36:37], v[40:41], s[0:1], -v[36:37]
	v_fma_f64 v[38:39], v[42:43], s[0:1], -v[38:39]
	s_wait_alu 0xfffe
	v_fma_f64 v[12:13], v[12:13], s[16:17], -v[44:45]
	v_fma_f64 v[14:15], v[14:15], s[16:17], -v[46:47]
	;; [unrolled: 1-line block ×4, first 2 shown]
	s_mov_b32 s0, 0x37c3f68c
	s_mov_b32 s1, 0xbfdc38aa
	v_fma_f64 v[32:33], v[32:33], s[10:11], v[0:1]
	v_fma_f64 v[34:35], v[34:35], s[10:11], v[2:3]
	s_wait_alu 0xfffe
	v_fma_f64 v[26:27], v[4:5], s[0:1], v[28:29]
	v_fma_f64 v[24:25], v[6:7], s[0:1], v[30:31]
	;; [unrolled: 1-line block ×6, first 2 shown]
	v_add_f64_e32 v[40:41], v[8:9], v[32:33]
	v_add_f64_e32 v[42:43], v[10:11], v[34:35]
	;; [unrolled: 1-line block ×7, first 2 shown]
	v_add_f64_e64 v[6:7], v[42:43], -v[26:27]
	v_add_f64_e32 v[8:9], v[38:39], v[44:45]
	v_add_f64_e64 v[10:11], v[46:47], -v[36:37]
	v_add_f64_e64 v[12:13], v[16:17], -v[30:31]
	v_add_f64_e32 v[14:15], v[28:29], v[18:19]
	v_add_f64_e32 v[16:17], v[30:31], v[16:17]
	v_add_f64_e64 v[18:19], v[18:19], -v[28:29]
	v_add_f64_e64 v[20:21], v[44:45], -v[38:39]
	v_add_f64_e32 v[22:23], v[36:37], v[46:47]
	v_add_f64_e64 v[24:25], v[40:41], -v[24:25]
	v_add_f64_e32 v[26:27], v[26:27], v[42:43]
	ds_store_b128 v145, v[0:3]
	ds_store_b128 v145, v[4:7] offset:1760
	ds_store_b128 v145, v[8:11] offset:3520
	;; [unrolled: 1-line block ×6, first 2 shown]
	global_wb scope:SCOPE_SE
	s_wait_dscnt 0x0
	s_barrier_signal -1
	s_barrier_wait -1
	global_inv scope:SCOPE_SE
	s_and_b32 exec_lo, exec_lo, vcc_lo
	s_cbranch_execz .LBB0_23
; %bb.22:
	s_clause 0xa
	global_load_b128 v[0:3], v150, s[12:13]
	global_load_b128 v[4:7], v150, s[12:13] offset:1120
	global_load_b128 v[8:11], v150, s[12:13] offset:2240
	global_load_b128 v[12:15], v150, s[12:13] offset:3360
	global_load_b128 v[16:19], v150, s[12:13] offset:4480
	global_load_b128 v[20:23], v150, s[12:13] offset:5600
	global_load_b128 v[24:27], v150, s[12:13] offset:6720
	global_load_b128 v[28:31], v150, s[12:13] offset:7840
	global_load_b128 v[32:35], v150, s[12:13] offset:8960
	global_load_b128 v[36:39], v150, s[12:13] offset:10080
	global_load_b128 v[40:43], v150, s[12:13] offset:11200
	v_mad_co_u64_u32 v[88:89], null, s6, v104, 0
	v_mad_co_u64_u32 v[90:91], null, s4, v149, 0
	ds_load_b128 v[44:47], v145
	ds_load_b128 v[48:51], v145 offset:1120
	ds_load_b128 v[52:55], v145 offset:2240
	;; [unrolled: 1-line block ×3, first 2 shown]
	s_mul_u64 s[0:1], s[4:5], 0x460
	s_mov_b32 s2, 0xe6bb82fe
	v_mov_b32_e32 v60, v89
	s_mov_b32 s3, 0x3f554725
	v_mov_b32_e32 v68, v91
	s_delay_alu instid0(VALU_DEP_2)
	v_mad_co_u64_u32 v[76:77], null, s7, v104, v[60:61]
	ds_load_b128 v[60:63], v145 offset:4480
	ds_load_b128 v[64:67], v145 offset:5600
	v_mad_co_u64_u32 v[91:92], null, s5, v149, v[68:69]
	ds_load_b128 v[68:71], v145 offset:6720
	ds_load_b128 v[72:75], v145 offset:7840
	v_mov_b32_e32 v89, v76
	ds_load_b128 v[76:79], v145 offset:8960
	ds_load_b128 v[80:83], v145 offset:10080
	;; [unrolled: 1-line block ×3, first 2 shown]
	v_lshlrev_b64_e32 v[90:91], 4, v[90:91]
	v_lshlrev_b64_e32 v[88:89], 4, v[88:89]
	s_delay_alu instid0(VALU_DEP_1) | instskip(SKIP_1) | instid1(VALU_DEP_2)
	v_add_co_u32 v88, vcc_lo, s8, v88
	s_wait_alu 0xfffd
	v_add_co_ci_u32_e32 v89, vcc_lo, s9, v89, vcc_lo
	s_delay_alu instid0(VALU_DEP_2) | instskip(SKIP_1) | instid1(VALU_DEP_2)
	v_add_co_u32 v88, vcc_lo, v88, v90
	s_wait_alu 0xfffd
	v_add_co_ci_u32_e32 v89, vcc_lo, v89, v91, vcc_lo
	s_wait_alu 0xfffe
	s_delay_alu instid0(VALU_DEP_2) | instskip(SKIP_1) | instid1(VALU_DEP_2)
	v_add_co_u32 v90, vcc_lo, v88, s0
	s_wait_alu 0xfffd
	v_add_co_ci_u32_e32 v91, vcc_lo, s1, v89, vcc_lo
	s_wait_loadcnt_dscnt 0xa0a
	v_mul_f64_e32 v[92:93], v[46:47], v[2:3]
	v_mul_f64_e32 v[2:3], v[44:45], v[2:3]
	s_wait_loadcnt_dscnt 0x909
	v_mul_f64_e32 v[94:95], v[50:51], v[6:7]
	v_mul_f64_e32 v[6:7], v[48:49], v[6:7]
	;; [unrolled: 3-line block ×11, first 2 shown]
	v_fma_f64 v[44:45], v[44:45], v[0:1], v[92:93]
	v_fma_f64 v[2:3], v[0:1], v[46:47], -v[2:3]
	v_fma_f64 v[46:47], v[48:49], v[4:5], v[94:95]
	v_fma_f64 v[6:7], v[4:5], v[50:51], -v[6:7]
	;; [unrolled: 2-line block ×11, first 2 shown]
	v_add_co_u32 v66, vcc_lo, v90, s0
	s_wait_alu 0xfffd
	v_add_co_ci_u32_e32 v67, vcc_lo, s1, v91, vcc_lo
	s_delay_alu instid0(VALU_DEP_2) | instskip(SKIP_1) | instid1(VALU_DEP_2)
	v_add_co_u32 v68, vcc_lo, v66, s0
	s_wait_alu 0xfffd
	v_add_co_ci_u32_e32 v69, vcc_lo, s1, v67, vcc_lo
	s_delay_alu instid0(VALU_DEP_2) | instskip(SKIP_1) | instid1(VALU_DEP_2)
	v_add_co_u32 v70, vcc_lo, v68, s0
	s_wait_alu 0xfffd
	v_add_co_ci_u32_e32 v71, vcc_lo, s1, v69, vcc_lo
	v_mul_f64_e32 v[0:1], s[2:3], v[44:45]
	v_mul_f64_e32 v[2:3], s[2:3], v[2:3]
	;; [unrolled: 1-line block ×22, first 2 shown]
	v_add_co_u32 v44, vcc_lo, v70, s0
	s_wait_alu 0xfffd
	v_add_co_ci_u32_e32 v45, vcc_lo, s1, v71, vcc_lo
	s_delay_alu instid0(VALU_DEP_2) | instskip(SKIP_1) | instid1(VALU_DEP_2)
	v_add_co_u32 v46, vcc_lo, v44, s0
	s_wait_alu 0xfffd
	v_add_co_ci_u32_e32 v47, vcc_lo, s1, v45, vcc_lo
	s_delay_alu instid0(VALU_DEP_2) | instskip(SKIP_1) | instid1(VALU_DEP_2)
	;; [unrolled: 4-line block ×5, first 2 shown]
	v_add_co_u32 v54, vcc_lo, v52, s0
	s_wait_alu 0xfffd
	v_add_co_ci_u32_e32 v55, vcc_lo, s1, v53, vcc_lo
	s_clause 0x4
	global_store_b128 v[88:89], v[0:3], off
	global_store_b128 v[90:91], v[4:7], off
	;; [unrolled: 1-line block ×11, first 2 shown]
.LBB0_23:
	s_nop 0
	s_sendmsg sendmsg(MSG_DEALLOC_VGPRS)
	s_endpgm
	.section	.rodata,"a",@progbits
	.p2align	6, 0x0
	.amdhsa_kernel bluestein_single_fwd_len770_dim1_dp_op_CI_CI
		.amdhsa_group_segment_fixed_size 24640
		.amdhsa_private_segment_fixed_size 0
		.amdhsa_kernarg_size 104
		.amdhsa_user_sgpr_count 2
		.amdhsa_user_sgpr_dispatch_ptr 0
		.amdhsa_user_sgpr_queue_ptr 0
		.amdhsa_user_sgpr_kernarg_segment_ptr 1
		.amdhsa_user_sgpr_dispatch_id 0
		.amdhsa_user_sgpr_private_segment_size 0
		.amdhsa_wavefront_size32 1
		.amdhsa_uses_dynamic_stack 0
		.amdhsa_enable_private_segment 0
		.amdhsa_system_sgpr_workgroup_id_x 1
		.amdhsa_system_sgpr_workgroup_id_y 0
		.amdhsa_system_sgpr_workgroup_id_z 0
		.amdhsa_system_sgpr_workgroup_info 0
		.amdhsa_system_vgpr_workitem_id 0
		.amdhsa_next_free_vgpr 226
		.amdhsa_next_free_sgpr 42
		.amdhsa_reserve_vcc 1
		.amdhsa_float_round_mode_32 0
		.amdhsa_float_round_mode_16_64 0
		.amdhsa_float_denorm_mode_32 3
		.amdhsa_float_denorm_mode_16_64 3
		.amdhsa_fp16_overflow 0
		.amdhsa_workgroup_processor_mode 1
		.amdhsa_memory_ordered 1
		.amdhsa_forward_progress 0
		.amdhsa_round_robin_scheduling 0
		.amdhsa_exception_fp_ieee_invalid_op 0
		.amdhsa_exception_fp_denorm_src 0
		.amdhsa_exception_fp_ieee_div_zero 0
		.amdhsa_exception_fp_ieee_overflow 0
		.amdhsa_exception_fp_ieee_underflow 0
		.amdhsa_exception_fp_ieee_inexact 0
		.amdhsa_exception_int_div_zero 0
	.end_amdhsa_kernel
	.text
.Lfunc_end0:
	.size	bluestein_single_fwd_len770_dim1_dp_op_CI_CI, .Lfunc_end0-bluestein_single_fwd_len770_dim1_dp_op_CI_CI
                                        ; -- End function
	.section	.AMDGPU.csdata,"",@progbits
; Kernel info:
; codeLenInByte = 13124
; NumSgprs: 44
; NumVgprs: 226
; ScratchSize: 0
; MemoryBound: 0
; FloatMode: 240
; IeeeMode: 1
; LDSByteSize: 24640 bytes/workgroup (compile time only)
; SGPRBlocks: 5
; VGPRBlocks: 28
; NumSGPRsForWavesPerEU: 44
; NumVGPRsForWavesPerEU: 226
; Occupancy: 6
; WaveLimiterHint : 1
; COMPUTE_PGM_RSRC2:SCRATCH_EN: 0
; COMPUTE_PGM_RSRC2:USER_SGPR: 2
; COMPUTE_PGM_RSRC2:TRAP_HANDLER: 0
; COMPUTE_PGM_RSRC2:TGID_X_EN: 1
; COMPUTE_PGM_RSRC2:TGID_Y_EN: 0
; COMPUTE_PGM_RSRC2:TGID_Z_EN: 0
; COMPUTE_PGM_RSRC2:TIDIG_COMP_CNT: 0
	.text
	.p2alignl 7, 3214868480
	.fill 96, 4, 3214868480
	.type	__hip_cuid_83430d16068f7d8e,@object ; @__hip_cuid_83430d16068f7d8e
	.section	.bss,"aw",@nobits
	.globl	__hip_cuid_83430d16068f7d8e
__hip_cuid_83430d16068f7d8e:
	.byte	0                               ; 0x0
	.size	__hip_cuid_83430d16068f7d8e, 1

	.ident	"AMD clang version 19.0.0git (https://github.com/RadeonOpenCompute/llvm-project roc-6.4.0 25133 c7fe45cf4b819c5991fe208aaa96edf142730f1d)"
	.section	".note.GNU-stack","",@progbits
	.addrsig
	.addrsig_sym __hip_cuid_83430d16068f7d8e
	.amdgpu_metadata
---
amdhsa.kernels:
  - .args:
      - .actual_access:  read_only
        .address_space:  global
        .offset:         0
        .size:           8
        .value_kind:     global_buffer
      - .actual_access:  read_only
        .address_space:  global
        .offset:         8
        .size:           8
        .value_kind:     global_buffer
      - .actual_access:  read_only
        .address_space:  global
        .offset:         16
        .size:           8
        .value_kind:     global_buffer
      - .actual_access:  read_only
        .address_space:  global
        .offset:         24
        .size:           8
        .value_kind:     global_buffer
      - .actual_access:  read_only
        .address_space:  global
        .offset:         32
        .size:           8
        .value_kind:     global_buffer
      - .offset:         40
        .size:           8
        .value_kind:     by_value
      - .address_space:  global
        .offset:         48
        .size:           8
        .value_kind:     global_buffer
      - .address_space:  global
        .offset:         56
        .size:           8
        .value_kind:     global_buffer
      - .address_space:  global
        .offset:         64
        .size:           8
        .value_kind:     global_buffer
      - .address_space:  global
        .offset:         72
        .size:           8
        .value_kind:     global_buffer
      - .offset:         80
        .size:           4
        .value_kind:     by_value
      - .address_space:  global
        .offset:         88
        .size:           8
        .value_kind:     global_buffer
      - .address_space:  global
        .offset:         96
        .size:           8
        .value_kind:     global_buffer
    .group_segment_fixed_size: 24640
    .kernarg_segment_align: 8
    .kernarg_segment_size: 104
    .language:       OpenCL C
    .language_version:
      - 2
      - 0
    .max_flat_workgroup_size: 220
    .name:           bluestein_single_fwd_len770_dim1_dp_op_CI_CI
    .private_segment_fixed_size: 0
    .sgpr_count:     44
    .sgpr_spill_count: 0
    .symbol:         bluestein_single_fwd_len770_dim1_dp_op_CI_CI.kd
    .uniform_work_group_size: 1
    .uses_dynamic_stack: false
    .vgpr_count:     226
    .vgpr_spill_count: 0
    .wavefront_size: 32
    .workgroup_processor_mode: 1
amdhsa.target:   amdgcn-amd-amdhsa--gfx1201
amdhsa.version:
  - 1
  - 2
...

	.end_amdgpu_metadata
